;; amdgpu-corpus repo=ROCm/rocFFT kind=compiled arch=gfx906 opt=O3
	.text
	.amdgcn_target "amdgcn-amd-amdhsa--gfx906"
	.amdhsa_code_object_version 6
	.protected	fft_rtc_back_len1400_factors_2_2_2_5_7_5_wgs_56_tpt_56_halfLds_sp_ip_CI_unitstride_sbrr_dirReg ; -- Begin function fft_rtc_back_len1400_factors_2_2_2_5_7_5_wgs_56_tpt_56_halfLds_sp_ip_CI_unitstride_sbrr_dirReg
	.globl	fft_rtc_back_len1400_factors_2_2_2_5_7_5_wgs_56_tpt_56_halfLds_sp_ip_CI_unitstride_sbrr_dirReg
	.p2align	8
	.type	fft_rtc_back_len1400_factors_2_2_2_5_7_5_wgs_56_tpt_56_halfLds_sp_ip_CI_unitstride_sbrr_dirReg,@function
fft_rtc_back_len1400_factors_2_2_2_5_7_5_wgs_56_tpt_56_halfLds_sp_ip_CI_unitstride_sbrr_dirReg: ; @fft_rtc_back_len1400_factors_2_2_2_5_7_5_wgs_56_tpt_56_halfLds_sp_ip_CI_unitstride_sbrr_dirReg
; %bb.0:
	s_load_dwordx2 s[12:13], s[4:5], 0x50
	s_load_dwordx4 s[8:11], s[4:5], 0x0
	s_load_dwordx2 s[2:3], s[4:5], 0x18
	v_mul_u32_u24_e32 v1, 0x493, v0
	v_add_u32_sdwa v5, s6, v1 dst_sel:DWORD dst_unused:UNUSED_PAD src0_sel:DWORD src1_sel:WORD_1
	v_mov_b32_e32 v3, 0
	s_waitcnt lgkmcnt(0)
	v_cmp_lt_u64_e64 s[0:1], s[10:11], 2
	v_mov_b32_e32 v1, 0
	v_mov_b32_e32 v6, v3
	s_and_b64 vcc, exec, s[0:1]
	v_mov_b32_e32 v2, 0
	s_cbranch_vccnz .LBB0_8
; %bb.1:
	s_load_dwordx2 s[0:1], s[4:5], 0x10
	s_add_u32 s6, s2, 8
	s_addc_u32 s7, s3, 0
	v_mov_b32_e32 v1, 0
	v_mov_b32_e32 v2, 0
	s_waitcnt lgkmcnt(0)
	s_add_u32 s14, s0, 8
	s_addc_u32 s15, s1, 0
	s_mov_b64 s[16:17], 1
.LBB0_2:                                ; =>This Inner Loop Header: Depth=1
	s_load_dwordx2 s[18:19], s[14:15], 0x0
                                        ; implicit-def: $vgpr7_vgpr8
	s_waitcnt lgkmcnt(0)
	v_or_b32_e32 v4, s19, v6
	v_cmp_ne_u64_e32 vcc, 0, v[3:4]
	s_and_saveexec_b64 s[0:1], vcc
	s_xor_b64 s[20:21], exec, s[0:1]
	s_cbranch_execz .LBB0_4
; %bb.3:                                ;   in Loop: Header=BB0_2 Depth=1
	v_cvt_f32_u32_e32 v4, s18
	v_cvt_f32_u32_e32 v7, s19
	s_sub_u32 s0, 0, s18
	s_subb_u32 s1, 0, s19
	v_mac_f32_e32 v4, 0x4f800000, v7
	v_rcp_f32_e32 v4, v4
	v_mul_f32_e32 v4, 0x5f7ffffc, v4
	v_mul_f32_e32 v7, 0x2f800000, v4
	v_trunc_f32_e32 v7, v7
	v_mac_f32_e32 v4, 0xcf800000, v7
	v_cvt_u32_f32_e32 v7, v7
	v_cvt_u32_f32_e32 v4, v4
	v_mul_lo_u32 v8, s0, v7
	v_mul_hi_u32 v9, s0, v4
	v_mul_lo_u32 v11, s1, v4
	v_mul_lo_u32 v10, s0, v4
	v_add_u32_e32 v8, v9, v8
	v_add_u32_e32 v8, v8, v11
	v_mul_hi_u32 v9, v4, v10
	v_mul_lo_u32 v11, v4, v8
	v_mul_hi_u32 v13, v4, v8
	v_mul_hi_u32 v12, v7, v10
	v_mul_lo_u32 v10, v7, v10
	v_mul_hi_u32 v14, v7, v8
	v_add_co_u32_e32 v9, vcc, v9, v11
	v_addc_co_u32_e32 v11, vcc, 0, v13, vcc
	v_mul_lo_u32 v8, v7, v8
	v_add_co_u32_e32 v9, vcc, v9, v10
	v_addc_co_u32_e32 v9, vcc, v11, v12, vcc
	v_addc_co_u32_e32 v10, vcc, 0, v14, vcc
	v_add_co_u32_e32 v8, vcc, v9, v8
	v_addc_co_u32_e32 v9, vcc, 0, v10, vcc
	v_add_co_u32_e32 v4, vcc, v4, v8
	v_addc_co_u32_e32 v7, vcc, v7, v9, vcc
	v_mul_lo_u32 v8, s0, v7
	v_mul_hi_u32 v9, s0, v4
	v_mul_lo_u32 v10, s1, v4
	v_mul_lo_u32 v11, s0, v4
	v_add_u32_e32 v8, v9, v8
	v_add_u32_e32 v8, v8, v10
	v_mul_lo_u32 v12, v4, v8
	v_mul_hi_u32 v13, v4, v11
	v_mul_hi_u32 v14, v4, v8
	;; [unrolled: 1-line block ×3, first 2 shown]
	v_mul_lo_u32 v11, v7, v11
	v_mul_hi_u32 v9, v7, v8
	v_add_co_u32_e32 v12, vcc, v13, v12
	v_addc_co_u32_e32 v13, vcc, 0, v14, vcc
	v_mul_lo_u32 v8, v7, v8
	v_add_co_u32_e32 v11, vcc, v12, v11
	v_addc_co_u32_e32 v10, vcc, v13, v10, vcc
	v_addc_co_u32_e32 v9, vcc, 0, v9, vcc
	v_add_co_u32_e32 v8, vcc, v10, v8
	v_addc_co_u32_e32 v9, vcc, 0, v9, vcc
	v_add_co_u32_e32 v4, vcc, v4, v8
	v_addc_co_u32_e32 v9, vcc, v7, v9, vcc
	v_mad_u64_u32 v[7:8], s[0:1], v5, v9, 0
	v_mul_hi_u32 v10, v5, v4
	v_add_co_u32_e32 v11, vcc, v10, v7
	v_addc_co_u32_e32 v12, vcc, 0, v8, vcc
	v_mad_u64_u32 v[7:8], s[0:1], v6, v4, 0
	v_mad_u64_u32 v[9:10], s[0:1], v6, v9, 0
	v_add_co_u32_e32 v4, vcc, v11, v7
	v_addc_co_u32_e32 v4, vcc, v12, v8, vcc
	v_addc_co_u32_e32 v7, vcc, 0, v10, vcc
	v_add_co_u32_e32 v4, vcc, v4, v9
	v_addc_co_u32_e32 v9, vcc, 0, v7, vcc
	v_mul_lo_u32 v10, s19, v4
	v_mul_lo_u32 v11, s18, v9
	v_mad_u64_u32 v[7:8], s[0:1], s18, v4, 0
	v_add3_u32 v8, v8, v11, v10
	v_sub_u32_e32 v10, v6, v8
	v_mov_b32_e32 v11, s19
	v_sub_co_u32_e32 v7, vcc, v5, v7
	v_subb_co_u32_e64 v10, s[0:1], v10, v11, vcc
	v_subrev_co_u32_e64 v11, s[0:1], s18, v7
	v_subbrev_co_u32_e64 v10, s[0:1], 0, v10, s[0:1]
	v_cmp_le_u32_e64 s[0:1], s19, v10
	v_cndmask_b32_e64 v12, 0, -1, s[0:1]
	v_cmp_le_u32_e64 s[0:1], s18, v11
	v_cndmask_b32_e64 v11, 0, -1, s[0:1]
	v_cmp_eq_u32_e64 s[0:1], s19, v10
	v_cndmask_b32_e64 v10, v12, v11, s[0:1]
	v_add_co_u32_e64 v11, s[0:1], 2, v4
	v_addc_co_u32_e64 v12, s[0:1], 0, v9, s[0:1]
	v_add_co_u32_e64 v13, s[0:1], 1, v4
	v_addc_co_u32_e64 v14, s[0:1], 0, v9, s[0:1]
	v_subb_co_u32_e32 v8, vcc, v6, v8, vcc
	v_cmp_ne_u32_e64 s[0:1], 0, v10
	v_cmp_le_u32_e32 vcc, s19, v8
	v_cndmask_b32_e64 v10, v14, v12, s[0:1]
	v_cndmask_b32_e64 v12, 0, -1, vcc
	v_cmp_le_u32_e32 vcc, s18, v7
	v_cndmask_b32_e64 v7, 0, -1, vcc
	v_cmp_eq_u32_e32 vcc, s19, v8
	v_cndmask_b32_e32 v7, v12, v7, vcc
	v_cmp_ne_u32_e32 vcc, 0, v7
	v_cndmask_b32_e64 v7, v13, v11, s[0:1]
	v_cndmask_b32_e32 v8, v9, v10, vcc
	v_cndmask_b32_e32 v7, v4, v7, vcc
.LBB0_4:                                ;   in Loop: Header=BB0_2 Depth=1
	s_andn2_saveexec_b64 s[0:1], s[20:21]
	s_cbranch_execz .LBB0_6
; %bb.5:                                ;   in Loop: Header=BB0_2 Depth=1
	v_cvt_f32_u32_e32 v4, s18
	s_sub_i32 s20, 0, s18
	v_rcp_iflag_f32_e32 v4, v4
	v_mul_f32_e32 v4, 0x4f7ffffe, v4
	v_cvt_u32_f32_e32 v4, v4
	v_mul_lo_u32 v7, s20, v4
	v_mul_hi_u32 v7, v4, v7
	v_add_u32_e32 v4, v4, v7
	v_mul_hi_u32 v4, v5, v4
	v_mul_lo_u32 v7, v4, s18
	v_add_u32_e32 v8, 1, v4
	v_sub_u32_e32 v7, v5, v7
	v_subrev_u32_e32 v9, s18, v7
	v_cmp_le_u32_e32 vcc, s18, v7
	v_cndmask_b32_e32 v7, v7, v9, vcc
	v_cndmask_b32_e32 v4, v4, v8, vcc
	v_add_u32_e32 v8, 1, v4
	v_cmp_le_u32_e32 vcc, s18, v7
	v_cndmask_b32_e32 v7, v4, v8, vcc
	v_mov_b32_e32 v8, v3
.LBB0_6:                                ;   in Loop: Header=BB0_2 Depth=1
	s_or_b64 exec, exec, s[0:1]
	v_mul_lo_u32 v4, v8, s18
	v_mul_lo_u32 v11, v7, s19
	v_mad_u64_u32 v[9:10], s[0:1], v7, s18, 0
	s_load_dwordx2 s[0:1], s[6:7], 0x0
	s_add_u32 s16, s16, 1
	v_add3_u32 v4, v10, v11, v4
	v_sub_co_u32_e32 v5, vcc, v5, v9
	v_subb_co_u32_e32 v4, vcc, v6, v4, vcc
	s_waitcnt lgkmcnt(0)
	v_mul_lo_u32 v4, s0, v4
	v_mul_lo_u32 v6, s1, v5
	v_mad_u64_u32 v[1:2], s[0:1], s0, v5, v[1:2]
	s_addc_u32 s17, s17, 0
	s_add_u32 s6, s6, 8
	v_add3_u32 v2, v6, v2, v4
	v_mov_b32_e32 v4, s10
	v_mov_b32_e32 v5, s11
	s_addc_u32 s7, s7, 0
	v_cmp_ge_u64_e32 vcc, s[16:17], v[4:5]
	s_add_u32 s14, s14, 8
	s_addc_u32 s15, s15, 0
	s_cbranch_vccnz .LBB0_9
; %bb.7:                                ;   in Loop: Header=BB0_2 Depth=1
	v_mov_b32_e32 v5, v7
	v_mov_b32_e32 v6, v8
	s_branch .LBB0_2
.LBB0_8:
	v_mov_b32_e32 v8, v6
	v_mov_b32_e32 v7, v5
.LBB0_9:
	s_lshl_b64 s[0:1], s[10:11], 3
	s_add_u32 s0, s2, s0
	s_addc_u32 s1, s3, s1
	s_load_dwordx2 s[2:3], s[0:1], 0x0
	s_load_dwordx2 s[6:7], s[4:5], 0x20
                                        ; implicit-def: $sgpr4
                                        ; implicit-def: $vgpr85
	s_waitcnt lgkmcnt(0)
	v_mad_u64_u32 v[1:2], s[0:1], s2, v7, v[1:2]
	s_mov_b32 s0, 0x4924925
	v_mul_lo_u32 v3, s2, v8
	v_mul_lo_u32 v4, s3, v7
	v_mul_hi_u32 v5, v0, s0
	v_cmp_gt_u64_e64 s[0:1], s[6:7], v[7:8]
	v_cmp_le_u64_e32 vcc, s[6:7], v[7:8]
	v_add3_u32 v2, v4, v2, v3
	v_mul_u32_u24_e32 v3, 56, v5
	v_sub_u32_e32 v0, v0, v3
	s_and_saveexec_b64 s[2:3], vcc
	s_xor_b64 s[2:3], exec, s[2:3]
; %bb.10:
	v_or_b32_e32 v85, 0x1c0, v0
	s_mov_b32 s4, 0
; %bb.11:
	s_or_saveexec_b64 s[2:3], s[2:3]
	v_lshlrev_b64 v[2:3], 3, v[1:2]
	v_mov_b32_e32 v28, s4
	v_mov_b32_e32 v1, s4
                                        ; implicit-def: $vgpr24
                                        ; implicit-def: $vgpr18
                                        ; implicit-def: $vgpr26
                                        ; implicit-def: $vgpr30
                                        ; implicit-def: $vgpr32
                                        ; implicit-def: $vgpr20
                                        ; implicit-def: $vgpr34
                                        ; implicit-def: $vgpr22
                                        ; implicit-def: $vgpr67
                                        ; implicit-def: $vgpr42
                                        ; implicit-def: $vgpr69
                                        ; implicit-def: $vgpr71
                                        ; implicit-def: $vgpr44
                                        ; implicit-def: $vgpr52
                                        ; implicit-def: $vgpr54
                                        ; implicit-def: $vgpr50
                                        ; implicit-def: $vgpr46
                                        ; implicit-def: $vgpr36
                                        ; implicit-def: $vgpr48
                                        ; implicit-def: $vgpr74
                                        ; implicit-def: $vgpr56
                                        ; implicit-def: $vgpr59
                                        ; implicit-def: $vgpr62
                                        ; implicit-def: $vgpr38
                                        ; implicit-def: $vgpr40
	s_xor_b64 exec, exec, s[2:3]
	s_cbranch_execz .LBB0_15
; %bb.12:
	v_mov_b32_e32 v1, 0
	v_mov_b32_e32 v4, s13
	v_add_co_u32_e32 v6, vcc, s12, v2
	v_addc_co_u32_e32 v7, vcc, v4, v3, vcc
	v_lshlrev_b64 v[4:5], 3, v[0:1]
	s_movk_i32 s4, 0x2000
	v_add_co_u32_e32 v4, vcc, v6, v4
	v_addc_co_u32_e32 v5, vcc, v7, v5, vcc
	v_add_co_u32_e32 v8, vcc, 0x1000, v4
	v_addc_co_u32_e32 v9, vcc, 0, v5, vcc
	v_add_co_u32_e32 v10, vcc, s4, v4
	global_load_dwordx2 v[17:18], v[8:9], off offset:1504
	global_load_dwordx2 v[39:40], v[8:9], off offset:1952
	;; [unrolled: 1-line block ×4, first 2 shown]
	v_addc_co_u32_e32 v11, vcc, 0, v5, vcc
	global_load_dwordx2 v[35:36], v[8:9], off offset:832
	global_load_dwordx2 v[21:22], v[8:9], off offset:3296
	;; [unrolled: 1-line block ×12, first 2 shown]
	global_load_dwordx2 v[23:24], v[4:5], off
	global_load_dwordx2 v[25:26], v[4:5], off offset:448
	global_load_dwordx2 v[29:30], v[4:5], off offset:896
                                        ; kill: killed $vgpr8 killed $vgpr9
                                        ; kill: killed $vgpr10 killed $vgpr11
	global_load_dwordx2 v[31:32], v[4:5], off offset:1344
	global_load_dwordx2 v[33:34], v[4:5], off offset:1792
	;; [unrolled: 1-line block ×5, first 2 shown]
	v_cmp_gt_u32_e32 vcc, 28, v0
	v_mov_b32_e32 v28, 0
                                        ; implicit-def: $vgpr73
	s_and_saveexec_b64 s[4:5], vcc
	s_cbranch_execz .LBB0_14
; %bb.13:
	v_or_b32_e32 v8, 0x2a0, v0
	v_mov_b32_e32 v9, v1
	v_lshlrev_b64 v[8:9], 3, v[8:9]
	v_add_co_u32_e32 v6, vcc, v6, v8
	v_addc_co_u32_e32 v7, vcc, v7, v9, vcc
	v_add_co_u32_e32 v4, vcc, 0x2000, v4
	v_addc_co_u32_e32 v5, vcc, 0, v5, vcc
	global_load_dwordx2 v[27:28], v[6:7], off
	global_load_dwordx2 v[73:74], v[4:5], off offset:2784
	s_waitcnt vmcnt(1)
	v_mov_b32_e32 v1, v27
.LBB0_14:
	s_or_b64 exec, exec, s[4:5]
	v_or_b32_e32 v85, 0x1c0, v0
.LBB0_15:
	s_or_b64 exec, exec, s[2:3]
	s_waitcnt vmcnt(7)
	v_sub_f32_e32 v5, v23, v17
	v_fma_f32 v4, v23, 2.0, -v5
	v_lshl_add_u32 v27, v0, 3, 0
	ds_write_b64 v27, v[4:5]
	s_waitcnt vmcnt(4)
	v_sub_f32_e32 v5, v31, v19
	v_add_u32_e32 v77, 0xa8, v0
	v_fma_f32 v4, v31, 2.0, -v5
	v_lshl_add_u32 v31, v77, 3, 0
	ds_write_b64 v31, v[4:5]
	s_waitcnt vmcnt(3)
	v_sub_f32_e32 v5, v33, v21
	v_add_u32_e32 v78, 0xe0, v0
	;; [unrolled: 6-line block ×3, first 2 shown]
	v_sub_f32_e32 v7, v25, v39
	v_fma_f32 v4, v66, 2.0, -v5
	v_lshl_add_u32 v39, v21, 3, 0
	ds_write_b64 v39, v[4:5]
	s_waitcnt vmcnt(1)
	v_sub_f32_e32 v5, v68, v61
	v_add_u32_e32 v23, 0x150, v0
	v_fma_f32 v4, v68, 2.0, -v5
	v_lshl_add_u32 v41, v23, 3, 0
	v_fma_f32 v6, v25, 2.0, -v7
	ds_write_b64 v41, v[4:5]
	s_waitcnt vmcnt(0)
	v_sub_f32_e32 v5, v70, v43
	v_add_u32_e32 v25, 0x188, v0
	v_fma_f32 v4, v70, 2.0, -v5
	v_lshl_add_u32 v68, v25, 3, 0
	v_sub_f32_e32 v9, v29, v37
	v_add_u32_e32 v75, 56, v0
	v_add_u32_e32 v76, 0x70, v0
	ds_write_b64 v68, v[4:5]
	v_sub_f32_e32 v5, v51, v58
	v_fma_f32 v8, v29, 2.0, -v9
	v_lshl_add_u32 v29, v75, 3, 0
	v_lshl_add_u32 v37, v76, 3, 0
	v_fma_f32 v4, v51, 2.0, -v5
	v_lshl_add_u32 v70, v85, 3, 0
	ds_write_b64 v29, v[6:7]
	ds_write_b64 v37, v[8:9]
	;; [unrolled: 1-line block ×3, first 2 shown]
	v_sub_f32_e32 v5, v53, v55
	v_add_u32_e32 v51, 0x1f8, v0
	v_fma_f32 v4, v53, 2.0, -v5
	v_lshl_add_u32 v53, v51, 3, 0
	ds_write_b64 v53, v[4:5]
	v_sub_f32_e32 v5, v49, v45
	v_fma_f32 v4, v49, 2.0, -v5
	v_add_u32_e32 v49, 0x230, v0
	v_lshl_add_u32 v55, v49, 3, 0
	ds_write_b64 v55, v[4:5]
	v_sub_f32_e32 v5, v35, v47
	v_add_u32_e32 v47, 0x268, v0
	v_fma_f32 v4, v35, 2.0, -v5
	v_lshl_add_u32 v35, v47, 3, 0
	ds_write_b64 v35, v[4:5]
	v_sub_f32_e32 v5, v1, v73
	v_add_u32_e32 v43, 0x2a0, v0
	v_fma_f32 v4, v1, 2.0, -v5
	v_cmp_gt_u32_e32 vcc, 28, v0
	v_lshl_add_u32 v79, v43, 3, 0
	s_and_saveexec_b64 s[2:3], vcc
	s_cbranch_execz .LBB0_17
; %bb.16:
	ds_write_b64 v79, v[4:5]
.LBB0_17:
	s_or_b64 exec, exec, s[2:3]
	v_lshl_add_u32 v1, v0, 2, 0
	v_add_u32_e32 v6, 0x800, v1
	s_waitcnt lgkmcnt(0)
	; wave barrier
	s_waitcnt lgkmcnt(0)
	ds_read2_b32 v[16:17], v6 offset0:104 offset1:188
	v_add_u32_e32 v6, 0xa00, v1
	v_add_u32_e32 v8, 0x200, v1
	ds_read2_b32 v[57:58], v1 offset1:56
	ds_read2_b32 v[12:13], v6 offset0:116 offset1:172
	ds_read2_b32 v[60:61], v1 offset0:112 offset1:168
	v_add_u32_e32 v6, 0xc00, v1
	ds_read2_b32 v[63:64], v8 offset0:96 offset1:152
	v_add_u32_e32 v8, 0xe00, v1
	v_add_u32_e32 v10, 0x400, v1
	;; [unrolled: 1-line block ×4, first 2 shown]
	ds_read2_b32 v[6:7], v6 offset0:100 offset1:156
	ds_read2_b32 v[8:9], v8 offset0:84 offset1:140
	;; [unrolled: 1-line block ×4, first 2 shown]
	v_lshl_add_u32 v84, v85, 2, 0
	ds_read2_b32 v[72:73], v15 offset0:120 offset1:176
	ds_read2_b32 v[14:15], v14 offset0:180 offset1:236
	ds_read_b32 v45, v84
	ds_read_b32 v86, v1 offset:5264
	s_and_saveexec_b64 s[2:3], vcc
	s_cbranch_execz .LBB0_19
; %bb.18:
	ds_read_b32 v4, v1 offset:2688
	ds_read_b32 v5, v1 offset:5488
.LBB0_19:
	s_or_b64 exec, exec, s[2:3]
	v_sub_f32_e32 v81, v24, v18
	v_sub_f32_e32 v19, v28, v74
	v_fma_f32 v80, v24, 2.0, -v81
	v_sub_f32_e32 v83, v26, v40
	v_sub_f32_e32 v88, v30, v38
	;; [unrolled: 1-line block ×11, first 2 shown]
	v_fma_f32 v18, v28, 2.0, -v19
	v_fma_f32 v82, v26, 2.0, -v83
	v_fma_f32 v87, v30, 2.0, -v88
	v_fma_f32 v89, v32, 2.0, -v90
	v_fma_f32 v91, v34, 2.0, -v92
	v_fma_f32 v93, v67, 2.0, -v94
	v_fma_f32 v95, v69, 2.0, -v96
	v_fma_f32 v97, v71, 2.0, -v98
	v_fma_f32 v99, v52, 2.0, -v100
	v_fma_f32 v101, v54, 2.0, -v102
	v_fma_f32 v103, v50, 2.0, -v104
	v_fma_f32 v105, v36, 2.0, -v106
	s_waitcnt lgkmcnt(0)
	; wave barrier
	s_waitcnt lgkmcnt(0)
	ds_write_b64 v27, v[80:81]
	ds_write_b64 v29, v[82:83]
	;; [unrolled: 1-line block ×12, first 2 shown]
	s_and_saveexec_b64 s[2:3], vcc
	s_cbranch_execz .LBB0_21
; %bb.20:
	ds_write_b64 v79, v[18:19]
.LBB0_21:
	s_or_b64 exec, exec, s[2:3]
	v_add_u32_e32 v20, 0x800, v1
	v_add_u32_e32 v24, 0xa00, v1
	v_lshlrev_b32_e32 v83, 1, v21
	v_lshlrev_b32_e32 v71, 1, v23
	s_waitcnt lgkmcnt(0)
	; wave barrier
	s_waitcnt lgkmcnt(0)
	ds_read2_b32 v[22:23], v1 offset1:56
	ds_read2_b32 v[20:21], v20 offset0:104 offset1:188
	ds_read2_b32 v[40:41], v24 offset0:116 offset1:172
	;; [unrolled: 1-line block ×3, first 2 shown]
	v_add_u32_e32 v24, 0xc00, v1
	ds_read2_b32 v[32:33], v24 offset0:100 offset1:156
	v_add_u32_e32 v24, 0x200, v1
	ds_read2_b32 v[28:29], v24 offset0:96 offset1:152
	;; [unrolled: 2-line block ×4, first 2 shown]
	v_add_u32_e32 v38, 0x1000, v1
	v_add_u32_e32 v24, 0x600, v1
	v_lshlrev_b32_e32 v70, 1, v25
	ds_read2_b32 v[36:37], v38 offset0:68 offset1:124
	ds_read2_b32 v[24:25], v24 offset0:120 offset1:176
	;; [unrolled: 1-line block ×3, first 2 shown]
	ds_read_b32 v89, v84
	ds_read_b32 v90, v1 offset:5264
	v_lshlrev_b32_e32 v74, 1, v0
	v_lshlrev_b32_e32 v79, 1, v75
	;; [unrolled: 1-line block ×9, first 2 shown]
	s_and_saveexec_b64 s[2:3], vcc
	s_cbranch_execz .LBB0_23
; %bb.22:
	ds_read_b32 v18, v1 offset:2688
	ds_read_b32 v19, v1 offset:5488
.LBB0_23:
	s_or_b64 exec, exec, s[2:3]
	v_and_b32_e32 v88, 1, v0
	v_lshlrev_b32_e32 v42, 3, v88
	global_load_dwordx2 v[54:55], v42, s[8:9]
	s_movk_i32 s2, 0x7c
	s_movk_i32 s3, 0xfc
	;; [unrolled: 1-line block ×5, first 2 shown]
	v_and_or_b32 v42, v74, s2, v88
	v_and_or_b32 v44, v79, s3, v88
	;; [unrolled: 1-line block ×8, first 2 shown]
	v_lshl_add_u32 v92, v42, 2, 0
	v_lshl_add_u32 v93, v44, 2, 0
	;; [unrolled: 1-line block ×8, first 2 shown]
	s_movk_i32 s2, 0x7fc
	s_waitcnt lgkmcnt(0)
	; wave barrier
	s_waitcnt lgkmcnt(0)
	v_and_or_b32 v52, v85, s5, v88
	s_waitcnt vmcnt(0)
	v_mul_f32_e32 v42, v21, v55
	v_mul_f32_e32 v62, v90, v55
	;; [unrolled: 1-line block ×9, first 2 shown]
	v_fmac_f32_e32 v42, v17, v54
	v_fmac_f32_e32 v62, v86, v54
	;; [unrolled: 1-line block ×9, first 2 shown]
	v_sub_f32_e32 v42, v57, v42
	v_sub_f32_e32 v62, v16, v62
	v_mul_f32_e32 v53, v37, v55
	v_mul_f32_e32 v56, v38, v55
	;; [unrolled: 1-line block ×4, first 2 shown]
	v_sub_f32_e32 v44, v58, v44
	v_sub_f32_e32 v46, v60, v46
	;; [unrolled: 1-line block ×7, first 2 shown]
	v_fma_f32 v57, v57, 2.0, -v42
	v_fma_f32 v102, v16, 2.0, -v62
	v_and_or_b32 v16, v69, s2, v88
	s_movk_i32 s2, 0x4fc
	v_fmac_f32_e32 v56, v14, v54
	v_fmac_f32_e32 v59, v15, v54
	;; [unrolled: 1-line block ×4, first 2 shown]
	v_fma_f32 v58, v58, 2.0, -v44
	v_fma_f32 v60, v60, 2.0, -v46
	;; [unrolled: 1-line block ×7, first 2 shown]
	ds_write2_b32 v92, v57, v42 offset1:2
	ds_write2_b32 v93, v58, v44 offset1:2
	;; [unrolled: 1-line block ×8, first 2 shown]
	v_and_or_b32 v42, v68, s2, v88
	s_movk_i32 s2, 0x5fc
	v_sub_f32_e32 v56, v72, v56
	v_sub_f32_e32 v59, v73, v59
	;; [unrolled: 1-line block ×4, first 2 shown]
	v_lshl_add_u32 v100, v42, 2, 0
	v_and_or_b32 v42, v67, s2, v88
	v_fma_f32 v91, v72, 2.0, -v56
	v_fma_f32 v73, v73, 2.0, -v59
	;; [unrolled: 1-line block ×4, first 2 shown]
	v_lshl_add_u32 v4, v52, 2, 0
	v_lshl_add_u32 v16, v16, 2, 0
	;; [unrolled: 1-line block ×3, first 2 shown]
	v_lshlrev_b32_e32 v66, 1, v43
	ds_write2_b32 v4, v45, v53 offset1:2
	ds_write2_b32 v16, v91, v56 offset1:2
	;; [unrolled: 1-line block ×4, first 2 shown]
	s_and_saveexec_b64 s[2:3], vcc
	s_cbranch_execz .LBB0_25
; %bb.24:
	s_movk_i32 s4, 0x57c
	v_and_or_b32 v42, v66, s4, v88
	v_lshl_add_u32 v42, v42, 2, 0
	ds_write2_b32 v42, v72, v87 offset1:2
.LBB0_25:
	s_or_b64 exec, exec, s[2:3]
	v_add_u32_e32 v42, 0x800, v1
	s_waitcnt lgkmcnt(0)
	; wave barrier
	s_waitcnt lgkmcnt(0)
	ds_read2_b32 v[52:53], v42 offset0:104 offset1:188
	v_add_u32_e32 v42, 0xa00, v1
	v_add_u32_e32 v44, 0x200, v1
	ds_read2_b32 v[56:57], v1 offset1:56
	ds_read2_b32 v[50:51], v42 offset0:116 offset1:172
	ds_read2_b32 v[58:59], v1 offset0:112 offset1:168
	v_add_u32_e32 v42, 0xc00, v1
	ds_read2_b32 v[60:61], v44 offset0:96 offset1:152
	v_add_u32_e32 v44, 0xe00, v1
	v_add_u32_e32 v46, 0x400, v1
	v_add_u32_e32 v48, 0x1000, v1
	v_add_u32_e32 v49, 0x600, v1
	ds_read2_b32 v[42:43], v42 offset0:100 offset1:156
	ds_read2_b32 v[44:45], v44 offset0:84 offset1:140
	;; [unrolled: 1-line block ×6, first 2 shown]
	ds_read_b32 v91, v84
	ds_read_b32 v73, v1 offset:5264
	s_and_saveexec_b64 s[2:3], vcc
	s_cbranch_execz .LBB0_27
; %bb.26:
	ds_read_b32 v72, v1 offset:2688
	ds_read_b32 v87, v1 offset:5488
.LBB0_27:
	s_or_b64 exec, exec, s[2:3]
	v_mul_f32_e32 v17, v17, v55
	v_mul_f32_e32 v12, v12, v55
	;; [unrolled: 1-line block ×6, first 2 shown]
	v_fma_f32 v17, v21, v54, -v17
	v_fma_f32 v12, v40, v54, -v12
	;; [unrolled: 1-line block ×6, first 2 shown]
	v_mul_f32_e32 v5, v5, v55
	v_mul_f32_e32 v9, v9, v55
	;; [unrolled: 1-line block ×7, first 2 shown]
	v_fma_f32 v5, v19, v54, -v5
	v_sub_f32_e32 v17, v22, v17
	v_sub_f32_e32 v12, v23, v12
	;; [unrolled: 1-line block ×6, first 2 shown]
	v_fma_f32 v9, v35, v54, -v9
	v_fma_f32 v10, v36, v54, -v10
	;; [unrolled: 1-line block ×6, first 2 shown]
	v_fma_f32 v19, v22, 2.0, -v17
	v_fma_f32 v22, v23, 2.0, -v12
	;; [unrolled: 1-line block ×6, first 2 shown]
	v_sub_f32_e32 v29, v18, v5
	v_sub_f32_e32 v9, v30, v9
	;; [unrolled: 1-line block ×7, first 2 shown]
	v_fma_f32 v40, v18, 2.0, -v29
	v_fma_f32 v30, v30, 2.0, -v9
	;; [unrolled: 1-line block ×7, first 2 shown]
	s_waitcnt lgkmcnt(0)
	; wave barrier
	s_waitcnt lgkmcnt(0)
	ds_write2_b32 v92, v19, v17 offset1:2
	ds_write2_b32 v93, v22, v12 offset1:2
	;; [unrolled: 1-line block ×12, first 2 shown]
	s_and_saveexec_b64 s[2:3], vcc
	s_cbranch_execz .LBB0_29
; %bb.28:
	s_movk_i32 s4, 0x57c
	v_and_or_b32 v4, v66, s4, v88
	v_lshl_add_u32 v4, v4, 2, 0
	ds_write2_b32 v4, v40, v29 offset1:2
.LBB0_29:
	s_or_b64 exec, exec, s[2:3]
	v_add_u32_e32 v4, 0x800, v1
	s_waitcnt lgkmcnt(0)
	; wave barrier
	s_waitcnt lgkmcnt(0)
	ds_read2_b32 v[5:6], v4 offset0:104 offset1:188
	v_add_u32_e32 v4, 0xa00, v1
	ds_read2_b32 v[7:8], v1 offset1:56
	ds_read2_b32 v[25:26], v4 offset0:116 offset1:172
	ds_read2_b32 v[11:12], v1 offset0:112 offset1:168
	v_add_u32_e32 v4, 0xc00, v1
	ds_read2_b32 v[17:18], v4 offset0:100 offset1:156
	v_add_u32_e32 v4, 0x200, v1
	;; [unrolled: 2-line block ×5, first 2 shown]
	v_add_u32_e32 v9, 0x600, v1
	ds_read2_b32 v[21:22], v4 offset0:68 offset1:124
	ds_read2_b32 v[9:10], v9 offset0:120 offset1:176
	;; [unrolled: 1-line block ×3, first 2 shown]
	ds_read_b32 v30, v84
	ds_read_b32 v31, v1 offset:5264
	s_and_saveexec_b64 s[2:3], vcc
	s_cbranch_execz .LBB0_31
; %bb.30:
	ds_read_b32 v40, v1 offset:2688
	ds_read_b32 v29, v1 offset:5488
.LBB0_31:
	s_or_b64 exec, exec, s[2:3]
	v_and_b32_e32 v41, 3, v0
	v_lshlrev_b32_e32 v4, 3, v41
	global_load_dwordx2 v[27:28], v4, s[8:9] offset:16
	s_movk_i32 s2, 0x78
	s_movk_i32 s3, 0xf8
	;; [unrolled: 1-line block ×5, first 2 shown]
	v_and_or_b32 v4, v74, s2, v41
	v_and_or_b32 v32, v79, s3, v41
	;; [unrolled: 1-line block ×9, first 2 shown]
	v_lshl_add_u32 v54, v4, 2, 0
	v_lshl_add_u32 v55, v32, 2, 0
	;; [unrolled: 1-line block ×9, first 2 shown]
	s_movk_i32 s2, 0x7f8
	s_waitcnt lgkmcnt(0)
	; wave barrier
	s_waitcnt vmcnt(0) lgkmcnt(0)
	v_mul_f32_e32 v4, v6, v28
	v_mul_f32_e32 v32, v25, v28
	;; [unrolled: 1-line block ×9, first 2 shown]
	v_fmac_f32_e32 v4, v53, v27
	v_mul_f32_e32 v85, v31, v28
	v_mul_f32_e32 v86, v29, v28
	v_fmac_f32_e32 v32, v50, v27
	v_fmac_f32_e32 v33, v51, v27
	;; [unrolled: 1-line block ×8, first 2 shown]
	v_sub_f32_e32 v88, v56, v4
	v_fmac_f32_e32 v85, v73, v27
	v_fmac_f32_e32 v86, v87, v27
	v_sub_f32_e32 v32, v57, v32
	v_sub_f32_e32 v33, v58, v33
	;; [unrolled: 1-line block ×8, first 2 shown]
	v_fma_f32 v56, v56, 2.0, -v88
	v_mul_f32_e32 v83, v23, v28
	v_mul_f32_e32 v84, v24, v28
	v_sub_f32_e32 v85, v52, v85
	v_sub_f32_e32 v4, v72, v86
	v_fma_f32 v57, v57, 2.0, -v32
	v_fma_f32 v58, v58, 2.0, -v33
	;; [unrolled: 1-line block ×8, first 2 shown]
	ds_write2_b32 v54, v56, v88 offset1:4
	ds_write2_b32 v55, v57, v32 offset1:4
	;; [unrolled: 1-line block ×9, first 2 shown]
	v_and_or_b32 v32, v69, s2, v41
	s_movk_i32 s2, 0x4f8
	v_fmac_f32_e32 v83, v48, v27
	v_fmac_f32_e32 v84, v49, v27
	v_fma_f32 v89, v52, 2.0, -v85
	v_lshl_add_u32 v52, v32, 2, 0
	v_and_or_b32 v32, v68, s2, v41
	s_movk_i32 s2, 0x5f8
	v_sub_f32_e32 v83, v64, v83
	v_sub_f32_e32 v84, v65, v84
	v_lshl_add_u32 v56, v32, 2, 0
	v_and_or_b32 v32, v67, s2, v41
	v_fma_f32 v64, v64, 2.0, -v83
	v_fma_f32 v65, v65, 2.0, -v84
	v_lshl_add_u32 v59, v32, 2, 0
	ds_write2_b32 v52, v64, v83 offset1:4
	ds_write2_b32 v56, v65, v84 offset1:4
	;; [unrolled: 1-line block ×3, first 2 shown]
	s_and_saveexec_b64 s[2:3], vcc
	s_cbranch_execz .LBB0_33
; %bb.32:
	s_movk_i32 s4, 0x578
	v_and_or_b32 v32, v66, s4, v41
	v_lshl_add_u32 v32, v32, 2, 0
	v_fma_f32 v33, v72, 2.0, -v4
	ds_write2_b32 v32, v33, v4 offset1:4
.LBB0_33:
	s_or_b64 exec, exec, s[2:3]
	v_mul_f32_e32 v32, v53, v28
	v_fma_f32 v6, v6, v27, -v32
	v_mul_f32_e32 v32, v50, v28
	v_fma_f32 v25, v25, v27, -v32
	;; [unrolled: 2-line block ×12, first 2 shown]
	v_sub_f32_e32 v43, v7, v6
	v_sub_f32_e32 v68, v5, v31
	v_fma_f32 v44, v7, 2.0, -v43
	v_sub_f32_e32 v45, v8, v25
	v_sub_f32_e32 v50, v13, v18
	;; [unrolled: 1-line block ×7, first 2 shown]
	v_fma_f32 v69, v5, 2.0, -v68
	v_add_u32_e32 v7, 0x200, v1
	v_add_u32_e32 v5, 0x800, v1
	;; [unrolled: 1-line block ×5, first 2 shown]
	v_mul_f32_e32 v28, v87, v28
	v_fma_f32 v46, v8, 2.0, -v45
	v_sub_f32_e32 v48, v12, v17
	v_fma_f32 v51, v13, 2.0, -v50
	v_fma_f32 v61, v14, 2.0, -v53
	;; [unrolled: 1-line block ×6, first 2 shown]
	s_waitcnt lgkmcnt(0)
	; wave barrier
	s_waitcnt lgkmcnt(0)
	ds_read2_b32 v[15:16], v1 offset1:56
	ds_read2_b32 v[8:9], v7 offset0:96 offset1:152
	ds_read2_b32 v[36:37], v5 offset0:48 offset1:104
	ds_read2_b32 v[17:18], v58 offset0:16 offset1:72
	ds_read2_b32 v[38:39], v57 offset0:96 offset1:152
	ds_read2_b32 v[34:35], v60 offset0:80 offset1:136
	ds_read2_b32 v[32:33], v58 offset0:128 offset1:184
	ds_read2_b32 v[13:14], v1 offset0:112 offset1:168
	ds_read2_b32 v[30:31], v5 offset0:160 offset1:216
	v_fma_f32 v27, v29, v27, -v28
	v_add_u32_e32 v19, 0x1200, v1
	v_add_u32_e32 v42, 0xe00, v1
	v_sub_f32_e32 v47, v11, v26
	v_fma_f32 v49, v12, 2.0, -v48
	v_sub_f32_e32 v67, v10, v24
	v_sub_f32_e32 v6, v40, v27
	ds_read2_b32 v[28:29], v19 offset0:80 offset1:136
	ds_read2_b32 v[26:27], v60 offset0:192 offset1:248
	;; [unrolled: 1-line block ×3, first 2 shown]
	ds_read_b32 v12, v1 offset:5376
	v_fma_f32 v11, v11, 2.0, -v47
	v_fma_f32 v10, v10, 2.0, -v67
	s_waitcnt lgkmcnt(0)
	; wave barrier
	s_waitcnt lgkmcnt(0)
	ds_write2_b32 v54, v44, v43 offset1:4
	ds_write2_b32 v55, v46, v45 offset1:4
	;; [unrolled: 1-line block ×12, first 2 shown]
	s_and_saveexec_b64 s[2:3], vcc
	s_cbranch_execz .LBB0_35
; %bb.34:
	s_movk_i32 s4, 0x578
	v_and_or_b32 v11, v66, s4, v41
	v_fma_f32 v10, v40, 2.0, -v6
	v_lshl_add_u32 v11, v11, 2, 0
	ds_write2_b32 v11, v10, v6 offset1:4
.LBB0_35:
	s_or_b64 exec, exec, s[2:3]
	v_and_b32_e32 v103, 7, v0
	v_lshlrev_b32_e32 v10, 5, v103
	s_waitcnt lgkmcnt(0)
	; wave barrier
	s_waitcnt lgkmcnt(0)
	global_load_dwordx4 v[85:88], v10, s[8:9] offset:48
	global_load_dwordx4 v[89:92], v10, s[8:9] offset:64
	ds_read2_b32 v[20:21], v1 offset1:56
	ds_read2_b32 v[10:11], v7 offset0:96 offset1:152
	ds_read2_b32 v[40:41], v5 offset0:48 offset1:104
	;; [unrolled: 1-line block ×11, first 2 shown]
	ds_read_b32 v19, v1 offset:5376
	s_waitcnt lgkmcnt(0)
	; wave barrier
	s_waitcnt lgkmcnt(0)
	v_cmp_gt_u32_e32 vcc, 32, v0
	s_waitcnt vmcnt(1)
	v_mul_f32_e32 v69, v11, v86
	v_mul_f32_e32 v43, v9, v86
	;; [unrolled: 1-line block ×3, first 2 shown]
	v_fmac_f32_e32 v69, v9, v85
	v_mul_f32_e32 v9, v27, v86
	v_mul_f32_e32 v70, v40, v88
	;; [unrolled: 1-line block ×3, first 2 shown]
	v_fma_f32 v82, v40, v87, -v45
	v_fma_f32 v40, v100, v85, -v9
	v_mul_f32_e32 v9, v17, v88
	v_mul_f32_e32 v62, v41, v88
	v_fma_f32 v74, v41, v87, -v68
	v_fma_f32 v41, v93, v87, -v9
	s_waitcnt vmcnt(0)
	v_mul_f32_e32 v9, v25, v90
	v_fma_f32 v81, v11, v85, -v43
	v_fma_f32 v43, v102, v89, -v9
	v_mul_f32_e32 v9, v12, v92
	v_mul_f32_e32 v71, v94, v90
	v_fmac_f32_e32 v70, v36, v87
	v_fma_f32 v45, v19, v91, -v9
	v_add_f32_e32 v9, v15, v69
	v_mul_f32_e32 v72, v51, v92
	v_fmac_f32_e32 v71, v18, v89
	v_add_f32_e32 v9, v9, v70
	v_fmac_f32_e32 v72, v38, v91
	v_add_f32_e32 v9, v9, v71
	v_mul_f32_e32 v47, v18, v90
	v_mul_f32_e32 v53, v38, v92
	v_add_f32_e32 v18, v9, v72
	v_add_f32_e32 v9, v70, v71
	v_mul_f32_e32 v46, v101, v90
	v_fma_f32 v83, v94, v89, -v47
	v_fma_f32 v84, v51, v91, -v53
	v_mul_f32_e32 v47, v93, v88
	v_mul_f32_e32 v53, v19, v92
	v_fma_f32 v19, -0.5, v9, v15
	v_mul_f32_e32 v42, v99, v86
	v_mul_f32_e32 v110, v24, v90
	v_fmac_f32_e32 v46, v24, v89
	v_fmac_f32_e32 v47, v17, v87
	v_mul_f32_e32 v17, v102, v90
	v_sub_f32_e32 v9, v81, v84
	v_mov_b32_e32 v24, v19
	v_mul_f32_e32 v108, v26, v86
	v_fmac_f32_e32 v42, v26, v85
	v_fmac_f32_e32 v17, v25, v89
	;; [unrolled: 1-line block ×4, first 2 shown]
	v_sub_f32_e32 v12, v82, v83
	v_sub_f32_e32 v25, v69, v70
	v_sub_f32_e32 v26, v72, v71
	v_fmac_f32_e32 v19, 0x3f737871, v9
	v_fmac_f32_e32 v24, 0xbf167918, v12
	v_add_f32_e32 v25, v25, v26
	v_fmac_f32_e32 v19, 0x3f167918, v12
	v_fmac_f32_e32 v24, 0x3e9e377a, v25
	;; [unrolled: 1-line block ×3, first 2 shown]
	v_add_f32_e32 v25, v69, v72
	v_fma_f32 v15, -0.5, v25, v15
	v_mul_f32_e32 v61, v55, v86
	v_mov_b32_e32 v25, v15
	v_fmac_f32_e32 v61, v34, v85
	v_fmac_f32_e32 v25, 0x3f737871, v12
	v_fmac_f32_e32 v15, 0xbf737871, v12
	v_mul_f32_e32 v63, v66, v90
	v_mul_f32_e32 v7, v100, v86
	v_fmac_f32_e32 v62, v37, v87
	v_fmac_f32_e32 v25, 0xbf167918, v9
	;; [unrolled: 1-line block ×3, first 2 shown]
	v_add_f32_e32 v9, v16, v61
	v_mul_f32_e32 v65, v52, v92
	v_fmac_f32_e32 v63, v32, v89
	v_fmac_f32_e32 v7, v27, v85
	v_sub_f32_e32 v26, v70, v69
	v_sub_f32_e32 v27, v71, v72
	v_add_f32_e32 v9, v9, v62
	v_fmac_f32_e32 v65, v39, v91
	v_add_f32_e32 v26, v26, v27
	v_add_f32_e32 v9, v9, v63
	v_mul_f32_e32 v64, v34, v86
	v_mul_f32_e32 v80, v39, v92
	v_fmac_f32_e32 v25, 0x3e9e377a, v26
	v_fmac_f32_e32 v15, 0x3e9e377a, v26
	v_add_f32_e32 v26, v9, v65
	v_add_f32_e32 v9, v62, v63
	v_mul_f32_e32 v79, v32, v90
	v_mul_f32_e32 v59, v97, v92
	v_fma_f32 v73, v55, v85, -v64
	v_fma_f32 v80, v52, v91, -v80
	v_fma_f32 v27, -0.5, v9, v16
	v_mul_f32_e32 v50, v95, v88
	v_mul_f32_e32 v107, v28, v92
	;; [unrolled: 1-line block ×3, first 2 shown]
	v_fma_f32 v79, v66, v89, -v79
	v_fmac_f32_e32 v59, v28, v91
	v_sub_f32_e32 v9, v73, v80
	v_mov_b32_e32 v28, v27
	v_mul_f32_e32 v105, v30, v88
	v_mul_f32_e32 v111, v29, v92
	v_fmac_f32_e32 v50, v30, v87
	v_fmac_f32_e32 v48, v29, v91
	;; [unrolled: 1-line block ×3, first 2 shown]
	v_sub_f32_e32 v12, v74, v79
	v_sub_f32_e32 v29, v61, v62
	;; [unrolled: 1-line block ×3, first 2 shown]
	v_fmac_f32_e32 v27, 0x3f737871, v9
	v_fmac_f32_e32 v28, 0xbf167918, v12
	v_add_f32_e32 v29, v29, v30
	v_fmac_f32_e32 v27, 0x3f167918, v12
	v_fmac_f32_e32 v28, 0x3e9e377a, v29
	;; [unrolled: 1-line block ×3, first 2 shown]
	v_add_f32_e32 v29, v61, v65
	v_fmac_f32_e32 v16, -0.5, v29
	v_mul_f32_e32 v49, v56, v86
	v_mov_b32_e32 v29, v16
	v_fmac_f32_e32 v49, v35, v85
	v_fmac_f32_e32 v29, 0x3f737871, v12
	;; [unrolled: 1-line block ×3, first 2 shown]
	v_mul_f32_e32 v54, v67, v90
	v_mul_f32_e32 v44, v96, v88
	v_fmac_f32_e32 v29, 0xbf167918, v9
	v_fmac_f32_e32 v16, 0x3f167918, v9
	v_add_f32_e32 v9, v13, v49
	v_mul_f32_e32 v109, v31, v88
	v_fmac_f32_e32 v54, v33, v89
	v_fmac_f32_e32 v44, v31, v87
	v_sub_f32_e32 v30, v62, v61
	v_sub_f32_e32 v31, v63, v65
	v_add_f32_e32 v9, v9, v50
	v_add_f32_e32 v30, v30, v31
	;; [unrolled: 1-line block ×3, first 2 shown]
	v_mul_f32_e32 v104, v35, v86
	v_fmac_f32_e32 v29, 0x3e9e377a, v30
	v_fmac_f32_e32 v16, 0x3e9e377a, v30
	v_add_f32_e32 v30, v9, v59
	v_add_f32_e32 v9, v50, v54
	v_mul_f32_e32 v106, v33, v90
	v_fma_f32 v64, v56, v85, -v104
	v_fma_f32 v68, v97, v91, -v107
	v_fma_f32 v31, -0.5, v9, v13
	v_fma_f32 v66, v95, v87, -v105
	v_fma_f32 v67, v67, v89, -v106
	v_sub_f32_e32 v9, v64, v68
	v_mov_b32_e32 v32, v31
	v_fmac_f32_e32 v32, 0xbf737871, v9
	v_sub_f32_e32 v12, v66, v67
	v_sub_f32_e32 v33, v49, v50
	;; [unrolled: 1-line block ×3, first 2 shown]
	v_fmac_f32_e32 v31, 0x3f737871, v9
	v_fmac_f32_e32 v32, 0xbf167918, v12
	v_add_f32_e32 v33, v33, v34
	v_fmac_f32_e32 v31, 0x3f167918, v12
	v_fmac_f32_e32 v32, 0x3e9e377a, v33
	;; [unrolled: 1-line block ×3, first 2 shown]
	v_add_f32_e32 v33, v49, v59
	v_fma_f32 v33, -0.5, v33, v13
	v_mov_b32_e32 v34, v33
	v_fmac_f32_e32 v34, 0x3f737871, v12
	v_fmac_f32_e32 v33, 0xbf737871, v12
	;; [unrolled: 1-line block ×4, first 2 shown]
	v_add_f32_e32 v9, v14, v42
	v_add_f32_e32 v9, v9, v44
	v_sub_f32_e32 v13, v50, v49
	v_sub_f32_e32 v35, v54, v59
	v_add_f32_e32 v9, v9, v46
	v_add_f32_e32 v13, v13, v35
	;; [unrolled: 1-line block ×4, first 2 shown]
	v_fma_f32 v11, v99, v85, -v108
	v_fma_f32 v55, v98, v91, -v111
	v_fma_f32 v36, -0.5, v9, v14
	v_fma_f32 v51, v96, v87, -v109
	v_fma_f32 v52, v101, v89, -v110
	v_sub_f32_e32 v9, v11, v55
	v_mov_b32_e32 v37, v36
	v_fmac_f32_e32 v34, 0x3e9e377a, v13
	v_fmac_f32_e32 v33, 0x3e9e377a, v13
	;; [unrolled: 1-line block ×3, first 2 shown]
	v_sub_f32_e32 v12, v51, v52
	v_sub_f32_e32 v13, v42, v44
	;; [unrolled: 1-line block ×3, first 2 shown]
	v_fmac_f32_e32 v36, 0x3f737871, v9
	v_fmac_f32_e32 v37, 0xbf167918, v12
	v_add_f32_e32 v13, v13, v38
	v_fmac_f32_e32 v36, 0x3f167918, v12
	v_fmac_f32_e32 v37, 0x3e9e377a, v13
	;; [unrolled: 1-line block ×3, first 2 shown]
	v_add_f32_e32 v13, v42, v48
	v_fmac_f32_e32 v14, -0.5, v13
	v_mov_b32_e32 v38, v14
	v_fmac_f32_e32 v38, 0x3f737871, v12
	v_fmac_f32_e32 v14, 0xbf737871, v12
	;; [unrolled: 1-line block ×4, first 2 shown]
	v_add_f32_e32 v9, v8, v7
	v_add_f32_e32 v9, v9, v47
	v_sub_f32_e32 v13, v44, v42
	v_sub_f32_e32 v39, v46, v48
	v_add_f32_e32 v9, v9, v17
	v_add_f32_e32 v13, v13, v39
	;; [unrolled: 1-line block ×4, first 2 shown]
	v_fma_f32 v9, -0.5, v9, v8
	v_sub_f32_e32 v56, v40, v45
	v_mov_b32_e32 v12, v9
	v_fmac_f32_e32 v38, 0x3e9e377a, v13
	v_fmac_f32_e32 v14, 0x3e9e377a, v13
	v_fmac_f32_e32 v12, 0xbf737871, v56
	v_sub_f32_e32 v85, v41, v43
	v_sub_f32_e32 v13, v7, v47
	;; [unrolled: 1-line block ×3, first 2 shown]
	v_fmac_f32_e32 v9, 0x3f737871, v56
	v_fmac_f32_e32 v12, 0xbf167918, v85
	v_add_f32_e32 v13, v13, v86
	v_fmac_f32_e32 v9, 0x3f167918, v85
	v_fmac_f32_e32 v12, 0x3e9e377a, v13
	;; [unrolled: 1-line block ×3, first 2 shown]
	v_add_f32_e32 v13, v7, v53
	v_fmac_f32_e32 v8, -0.5, v13
	v_mov_b32_e32 v13, v8
	v_fmac_f32_e32 v13, 0x3f737871, v85
	v_fmac_f32_e32 v8, 0xbf737871, v85
	;; [unrolled: 1-line block ×4, first 2 shown]
	v_lshrrev_b32_e32 v56, 3, v0
	v_mul_u32_u24_e32 v56, 40, v56
	v_or_b32_e32 v56, v56, v103
	v_lshl_add_u32 v85, v56, 2, 0
	ds_write2_b32 v85, v18, v24 offset1:8
	ds_write2_b32 v85, v25, v15 offset0:16 offset1:24
	ds_write_b32 v85, v19 offset:128
	v_lshrrev_b32_e32 v15, 3, v75
	v_sub_f32_e32 v86, v47, v7
	v_sub_f32_e32 v87, v17, v53
	v_mul_u32_u24_e32 v15, 40, v15
	v_add_f32_e32 v86, v86, v87
	v_or_b32_e32 v15, v15, v103
	v_fmac_f32_e32 v13, 0x3e9e377a, v86
	v_fmac_f32_e32 v8, 0x3e9e377a, v86
	v_lshl_add_u32 v86, v15, 2, 0
	v_lshrrev_b32_e32 v15, 3, v76
	v_mul_u32_u24_e32 v15, 40, v15
	v_or_b32_e32 v15, v15, v103
	v_lshl_add_u32 v87, v15, 2, 0
	v_lshrrev_b32_e32 v15, 3, v77
	v_mul_u32_u24_e32 v15, 40, v15
	v_or_b32_e32 v15, v15, v103
	v_lshl_add_u32 v88, v15, 2, 0
	v_lshrrev_b32_e32 v56, 3, v78
	ds_write2_b32 v86, v26, v28 offset1:8
	ds_write2_b32 v86, v29, v16 offset0:16 offset1:24
	ds_write_b32 v86, v27 offset:128
	ds_write2_b32 v87, v30, v32 offset1:8
	ds_write2_b32 v87, v34, v33 offset0:16 offset1:24
	ds_write_b32 v87, v31 offset:128
	;; [unrolled: 3-line block ×3, first 2 shown]
	v_mul_u32_u24_e32 v14, 40, v56
	v_or_b32_e32 v14, v14, v103
	v_lshl_add_u32 v89, v14, 2, 0
	ds_write2_b32 v89, v39, v12 offset1:8
	ds_write2_b32 v89, v13, v8 offset0:16 offset1:24
	ds_write_b32 v89, v9 offset:128
	s_waitcnt lgkmcnt(0)
	; wave barrier
	s_waitcnt lgkmcnt(0)
	ds_read2_b32 v[18:19], v1 offset1:56
	ds_read2_b32 v[14:15], v1 offset0:112 offset1:200
	ds_read2_b32 v[38:39], v60 offset0:144 offset1:200
	ds_read2_b32 v[28:29], v5 offset1:88
	ds_read2_b32 v[36:37], v58 offset0:32 offset1:88
	ds_read2_b32 v[24:25], v58 offset0:144 offset1:232
	;; [unrolled: 1-line block ×3, first 2 shown]
	ds_read2_b32 v[32:33], v60 offset1:56
	ds_read2_b32 v[30:31], v5 offset0:144 offset1:200
	ds_read2_b32 v[26:27], v57 offset0:32 offset1:88
	ds_read_b32 v58, v1 offset:5248
                                        ; implicit-def: $vgpr57
	s_and_saveexec_b64 s[2:3], vcc
	s_cbranch_execz .LBB0_37
; %bb.36:
	v_add_u32_e32 v4, 0x200, v1
	ds_read2_b32 v[12:13], v4 offset0:40 offset1:240
	v_add_u32_e32 v4, 0x880, v1
	ds_read2_b32 v[8:9], v4 offset0:24 offset1:224
	;; [unrolled: 2-line block ×3, first 2 shown]
	ds_read_b32 v57, v1 offset:5472
.LBB0_37:
	s_or_b64 exec, exec, s[2:3]
	v_add_f32_e32 v16, v20, v81
	v_add_f32_e32 v16, v16, v82
	;; [unrolled: 1-line block ×5, first 2 shown]
	v_fma_f32 v90, -0.5, v16, v20
	v_sub_f32_e32 v16, v69, v72
	v_mov_b32_e32 v69, v90
	v_fmac_f32_e32 v69, 0x3f737871, v16
	v_sub_f32_e32 v70, v70, v71
	v_sub_f32_e32 v71, v81, v82
	;; [unrolled: 1-line block ×3, first 2 shown]
	v_fmac_f32_e32 v90, 0xbf737871, v16
	v_fmac_f32_e32 v69, 0x3f167918, v70
	v_add_f32_e32 v71, v71, v72
	v_fmac_f32_e32 v90, 0xbf167918, v70
	v_fmac_f32_e32 v69, 0x3e9e377a, v71
	;; [unrolled: 1-line block ×3, first 2 shown]
	v_add_f32_e32 v71, v81, v84
	v_fma_f32 v20, -0.5, v71, v20
	v_mov_b32_e32 v71, v20
	v_fmac_f32_e32 v71, 0xbf737871, v70
	v_fmac_f32_e32 v20, 0x3f737871, v70
	;; [unrolled: 1-line block ×4, first 2 shown]
	v_add_f32_e32 v16, v21, v73
	v_add_f32_e32 v16, v16, v74
	v_sub_f32_e32 v72, v82, v81
	v_sub_f32_e32 v81, v83, v84
	v_add_f32_e32 v16, v16, v79
	v_add_f32_e32 v72, v72, v81
	;; [unrolled: 1-line block ×4, first 2 shown]
	v_fmac_f32_e32 v71, 0x3e9e377a, v72
	v_fmac_f32_e32 v20, 0x3e9e377a, v72
	v_fma_f32 v72, -0.5, v16, v21
	v_sub_f32_e32 v16, v61, v65
	v_mov_b32_e32 v61, v72
	v_fmac_f32_e32 v61, 0x3f737871, v16
	v_sub_f32_e32 v62, v62, v63
	v_sub_f32_e32 v63, v73, v74
	;; [unrolled: 1-line block ×3, first 2 shown]
	v_fmac_f32_e32 v72, 0xbf737871, v16
	v_fmac_f32_e32 v61, 0x3f167918, v62
	v_add_f32_e32 v63, v63, v65
	v_fmac_f32_e32 v72, 0xbf167918, v62
	v_fmac_f32_e32 v61, 0x3e9e377a, v63
	;; [unrolled: 1-line block ×3, first 2 shown]
	v_add_f32_e32 v63, v73, v80
	v_fmac_f32_e32 v21, -0.5, v63
	v_mov_b32_e32 v63, v21
	v_fmac_f32_e32 v63, 0xbf737871, v62
	v_fmac_f32_e32 v21, 0x3f737871, v62
	;; [unrolled: 1-line block ×4, first 2 shown]
	v_add_f32_e32 v16, v22, v64
	v_add_f32_e32 v16, v16, v66
	v_sub_f32_e32 v65, v74, v73
	v_sub_f32_e32 v73, v79, v80
	v_add_f32_e32 v16, v16, v67
	v_add_f32_e32 v65, v65, v73
	;; [unrolled: 1-line block ×4, first 2 shown]
	v_fmac_f32_e32 v63, 0x3e9e377a, v65
	v_fmac_f32_e32 v21, 0x3e9e377a, v65
	v_fma_f32 v65, -0.5, v16, v22
	v_sub_f32_e32 v16, v49, v59
	v_mov_b32_e32 v49, v65
	v_fmac_f32_e32 v49, 0x3f737871, v16
	v_sub_f32_e32 v50, v50, v54
	v_sub_f32_e32 v54, v64, v66
	v_sub_f32_e32 v59, v68, v67
	v_fmac_f32_e32 v65, 0xbf737871, v16
	v_fmac_f32_e32 v49, 0x3f167918, v50
	v_add_f32_e32 v54, v54, v59
	v_fmac_f32_e32 v65, 0xbf167918, v50
	v_fmac_f32_e32 v49, 0x3e9e377a, v54
	v_fmac_f32_e32 v65, 0x3e9e377a, v54
	v_add_f32_e32 v54, v64, v68
	v_fma_f32 v22, -0.5, v54, v22
	v_mov_b32_e32 v54, v22
	v_fmac_f32_e32 v54, 0xbf737871, v50
	v_fmac_f32_e32 v22, 0x3f737871, v50
	;; [unrolled: 1-line block ×4, first 2 shown]
	v_add_f32_e32 v16, v23, v11
	v_add_f32_e32 v16, v16, v51
	v_sub_f32_e32 v59, v66, v64
	v_sub_f32_e32 v64, v67, v68
	v_add_f32_e32 v16, v16, v52
	v_add_f32_e32 v59, v59, v64
	;; [unrolled: 1-line block ×4, first 2 shown]
	v_fmac_f32_e32 v54, 0x3e9e377a, v59
	v_fmac_f32_e32 v22, 0x3e9e377a, v59
	v_fma_f32 v59, -0.5, v16, v23
	v_sub_f32_e32 v16, v42, v48
	v_mov_b32_e32 v42, v59
	v_fmac_f32_e32 v42, 0x3f737871, v16
	v_sub_f32_e32 v44, v44, v46
	v_sub_f32_e32 v46, v11, v51
	;; [unrolled: 1-line block ×3, first 2 shown]
	v_fmac_f32_e32 v59, 0xbf737871, v16
	v_fmac_f32_e32 v42, 0x3f167918, v44
	v_add_f32_e32 v46, v46, v48
	v_fmac_f32_e32 v59, 0xbf167918, v44
	v_fmac_f32_e32 v42, 0x3e9e377a, v46
	v_fmac_f32_e32 v59, 0x3e9e377a, v46
	v_add_f32_e32 v46, v11, v55
	v_fmac_f32_e32 v23, -0.5, v46
	v_mov_b32_e32 v46, v23
	v_fmac_f32_e32 v46, 0xbf737871, v44
	v_sub_f32_e32 v11, v51, v11
	v_sub_f32_e32 v48, v52, v55
	v_fmac_f32_e32 v23, 0x3f737871, v44
	v_fmac_f32_e32 v46, 0x3f167918, v16
	v_add_f32_e32 v11, v11, v48
	v_fmac_f32_e32 v23, 0xbf167918, v16
	v_fmac_f32_e32 v46, 0x3e9e377a, v11
	v_fmac_f32_e32 v23, 0x3e9e377a, v11
	v_add_f32_e32 v11, v10, v40
	v_add_f32_e32 v11, v11, v41
	;; [unrolled: 1-line block ×5, first 2 shown]
	v_fma_f32 v11, -0.5, v11, v10
	v_sub_f32_e32 v7, v7, v53
	v_mov_b32_e32 v16, v11
	v_fmac_f32_e32 v16, 0x3f737871, v7
	v_sub_f32_e32 v47, v47, v17
	v_sub_f32_e32 v17, v40, v41
	;; [unrolled: 1-line block ×3, first 2 shown]
	v_fmac_f32_e32 v11, 0xbf737871, v7
	v_fmac_f32_e32 v16, 0x3f167918, v47
	v_add_f32_e32 v17, v17, v48
	v_fmac_f32_e32 v11, 0xbf167918, v47
	v_fmac_f32_e32 v16, 0x3e9e377a, v17
	;; [unrolled: 1-line block ×3, first 2 shown]
	v_add_f32_e32 v17, v40, v45
	v_fmac_f32_e32 v10, -0.5, v17
	v_mov_b32_e32 v17, v10
	v_fmac_f32_e32 v17, 0xbf737871, v47
	v_sub_f32_e32 v40, v41, v40
	v_sub_f32_e32 v41, v43, v45
	v_fmac_f32_e32 v10, 0x3f737871, v47
	v_fmac_f32_e32 v17, 0x3f167918, v7
	v_add_f32_e32 v40, v40, v41
	v_fmac_f32_e32 v10, 0xbf167918, v7
	v_fmac_f32_e32 v17, 0x3e9e377a, v40
	;; [unrolled: 1-line block ×3, first 2 shown]
	s_waitcnt lgkmcnt(0)
	; wave barrier
	s_waitcnt lgkmcnt(0)
	ds_write2_b32 v85, v60, v69 offset1:8
	ds_write2_b32 v85, v71, v20 offset0:16 offset1:24
	ds_write_b32 v85, v90 offset:128
	ds_write2_b32 v86, v70, v61 offset1:8
	ds_write2_b32 v86, v63, v21 offset0:16 offset1:24
	ds_write_b32 v86, v72 offset:128
	;; [unrolled: 3-line block ×5, first 2 shown]
	v_add_u32_e32 v7, 0x400, v1
	v_add_u32_e32 v42, 0x800, v1
	;; [unrolled: 1-line block ×4, first 2 shown]
	s_waitcnt lgkmcnt(0)
	; wave barrier
	s_waitcnt lgkmcnt(0)
	ds_read2_b32 v[22:23], v1 offset1:56
	ds_read2_b32 v[20:21], v1 offset0:112 offset1:200
	ds_read2_b32 v[52:53], v7 offset0:144 offset1:200
	ds_read2_b32 v[44:45], v42 offset1:88
	ds_read2_b32 v[54:55], v40 offset0:32 offset1:88
	ds_read2_b32 v[40:41], v40 offset0:144 offset1:232
	;; [unrolled: 1-line block ×3, first 2 shown]
	ds_read2_b32 v[48:49], v7 offset1:56
	ds_read2_b32 v[46:47], v42 offset0:144 offset1:200
	ds_read2_b32 v[42:43], v43 offset0:32 offset1:88
	ds_read_b32 v74, v1 offset:5248
                                        ; implicit-def: $vgpr73
	s_and_saveexec_b64 s[2:3], vcc
	s_cbranch_execz .LBB0_39
; %bb.38:
	v_add_u32_e32 v6, 0x200, v1
	ds_read2_b32 v[16:17], v6 offset0:40 offset1:240
	v_add_u32_e32 v6, 0x880, v1
	ds_read2_b32 v[10:11], v6 offset0:24 offset1:224
	;; [unrolled: 2-line block ×3, first 2 shown]
	ds_read_b32 v73, v1 offset:5472
.LBB0_39:
	s_or_b64 exec, exec, s[2:3]
	v_subrev_u32_e32 v59, 40, v0
	v_cmp_gt_u32_e64 s[2:3], 40, v0
	v_cndmask_b32_e64 v123, v59, v0, s[2:3]
	v_mul_i32_i24_e32 v59, 6, v123
	v_mov_b32_e32 v60, 0
	v_lshlrev_b64 v[59:60], 3, v[59:60]
	v_mov_b32_e32 v61, s9
	v_add_co_u32_e64 v59, s[2:3], s8, v59
	v_addc_co_u32_e64 v60, s[2:3], v61, v60, s[2:3]
	s_movk_i32 s2, 0xcd
	global_load_dwordx4 v[67:70], v[59:60], off offset:304
	global_load_dwordx4 v[79:82], v[59:60], off offset:320
	;; [unrolled: 1-line block ×3, first 2 shown]
	v_mul_lo_u16_sdwa v60, v75, s2 dst_sel:DWORD dst_unused:UNUSED_PAD src0_sel:BYTE_0 src1_sel:DWORD
	v_lshrrev_b16_e32 v124, 13, v60
	v_mul_lo_u16_e32 v60, 40, v124
	v_mov_b32_e32 v59, 6
	v_sub_u16_e32 v125, v75, v60
	v_mul_u32_u24_sdwa v60, v125, v59 dst_sel:DWORD dst_unused:UNUSED_PAD src0_sel:BYTE_0 src1_sel:DWORD
	v_lshlrev_b32_e32 v60, 3, v60
	global_load_dwordx4 v[87:90], v60, s[8:9] offset:304
	global_load_dwordx4 v[91:94], v60, s[8:9] offset:320
	;; [unrolled: 1-line block ×3, first 2 shown]
	v_mul_lo_u16_sdwa v60, v76, s2 dst_sel:DWORD dst_unused:UNUSED_PAD src0_sel:BYTE_0 src1_sel:DWORD
	v_lshrrev_b16_e32 v126, 13, v60
	v_mul_lo_u16_e32 v60, 40, v126
	v_sub_u16_e32 v127, v76, v60
	v_mul_u32_u24_sdwa v59, v127, v59 dst_sel:DWORD dst_unused:UNUSED_PAD src0_sel:BYTE_0 src1_sel:DWORD
	v_lshlrev_b32_e32 v59, 3, v59
	global_load_dwordx4 v[99:102], v59, s[8:9] offset:304
	global_load_dwordx4 v[103:106], v59, s[8:9] offset:320
	;; [unrolled: 1-line block ×3, first 2 shown]
	v_mul_lo_u16_sdwa v59, v77, s2 dst_sel:DWORD dst_unused:UNUSED_PAD src0_sel:BYTE_0 src1_sel:DWORD
	v_lshrrev_b16_e32 v59, 13, v59
	v_mul_lo_u16_e32 v59, 40, v59
	v_sub_u16_e32 v59, v77, v59
	v_and_b32_e32 v128, 0xff, v59
	v_mul_u32_u24_e32 v59, 6, v128
	v_lshlrev_b32_e32 v59, 3, v59
	global_load_dwordx4 v[111:114], v59, s[8:9] offset:304
	global_load_dwordx4 v[115:118], v59, s[8:9] offset:336
	global_load_dwordx4 v[119:122], v59, s[8:9] offset:320
	s_mov_b32 s4, 0xbf5ff5aa
	s_mov_b32 s5, 0x3f3bfb3b
	;; [unrolled: 1-line block ×4, first 2 shown]
	v_cmp_lt_u32_e64 s[2:3], 39, v0
	s_waitcnt lgkmcnt(0)
	; wave barrier
	s_waitcnt vmcnt(11) lgkmcnt(0)
	v_mul_f32_e32 v61, v21, v68
	v_mul_f32_e32 v59, v15, v68
	;; [unrolled: 1-line block ×4, first 2 shown]
	s_waitcnt vmcnt(10)
	v_mul_f32_e32 v70, v29, v80
	v_mul_f32_e32 v71, v36, v82
	s_waitcnt vmcnt(9)
	v_mul_f32_e32 v72, v25, v84
	v_fmac_f32_e32 v61, v15, v67
	v_fma_f32 v67, v21, v67, -v59
	s_waitcnt vmcnt(8)
	v_mul_f32_e32 v21, v39, v90
	v_mul_f32_e32 v63, v45, v80
	;; [unrolled: 1-line block ×3, first 2 shown]
	v_fmac_f32_e32 v62, v38, v69
	v_fma_f32 v68, v52, v69, -v60
	v_mul_f32_e32 v15, v34, v86
	v_fma_f32 v69, v45, v79, -v70
	v_fma_f32 v70, v54, v81, -v71
	;; [unrolled: 1-line block ×3, first 2 shown]
	v_mul_f32_e32 v41, v48, v88
	v_mul_f32_e32 v45, v53, v90
	v_fma_f32 v53, v53, v89, -v21
	s_waitcnt vmcnt(5)
	v_mul_f32_e32 v21, v33, v100
	v_mul_f32_e32 v64, v54, v82
	v_fma_f32 v72, v50, v85, -v15
	v_mul_f32_e32 v15, v32, v88
	v_mul_f32_e32 v59, v51, v98
	v_fmac_f32_e32 v41, v32, v87
	v_fma_f32 v32, v49, v99, -v21
	v_mul_f32_e32 v21, v28, v102
	v_fmac_f32_e32 v64, v36, v81
	v_mul_f32_e32 v52, v55, v94
	v_fma_f32 v48, v48, v87, -v15
	v_fmac_f32_e32 v59, v35, v97
	v_mul_f32_e32 v15, v35, v98
	v_fma_f32 v36, v44, v101, -v21
	s_waitcnt vmcnt(4)
	v_mul_f32_e32 v35, v47, v104
	v_mul_f32_e32 v21, v31, v104
	v_fmac_f32_e32 v63, v29, v79
	v_mul_f32_e32 v29, v37, v94
	v_fmac_f32_e32 v52, v37, v93
	v_fmac_f32_e32 v35, v31, v103
	v_fma_f32 v31, v47, v103, -v21
	v_mul_f32_e32 v37, v40, v106
	v_mul_f32_e32 v21, v24, v106
	;; [unrolled: 1-line block ×3, first 2 shown]
	v_fmac_f32_e32 v37, v24, v105
	v_fma_f32 v24, v40, v105, -v21
	s_waitcnt vmcnt(3)
	v_mul_f32_e32 v21, v27, v108
	v_fmac_f32_e32 v66, v34, v85
	v_mul_f32_e32 v34, v26, v96
	v_fmac_f32_e32 v45, v39, v89
	v_fma_f32 v39, v43, v107, -v21
	v_mul_f32_e32 v21, v58, v110
	v_mul_f32_e32 v54, v42, v96
	v_fma_f32 v60, v42, v95, -v34
	v_fma_f32 v42, v74, v109, -v21
	s_waitcnt vmcnt(2)
	v_mul_f32_e32 v21, v17, v112
	v_mul_f32_e32 v50, v46, v92
	v_fmac_f32_e32 v21, v13, v111
	v_mul_f32_e32 v13, v13, v112
	v_fmac_f32_e32 v65, v25, v83
	;; [unrolled: 2-line block ×3, first 2 shown]
	v_fmac_f32_e32 v54, v26, v95
	v_fma_f32 v26, v17, v111, -v13
	v_mul_f32_e32 v17, v10, v114
	s_waitcnt vmcnt(0)
	v_mul_f32_e32 v30, v6, v122
	v_fma_f32 v46, v46, v91, -v25
	v_mul_f32_e32 v25, v44, v102
	v_fmac_f32_e32 v17, v8, v113
	v_mul_f32_e32 v8, v8, v114
	v_fmac_f32_e32 v30, v4, v121
	;; [unrolled: 2-line block ×3, first 2 shown]
	v_fma_f32 v28, v10, v113, -v8
	v_mul_f32_e32 v8, v9, v120
	v_fma_f32 v4, v6, v121, -v4
	v_mul_f32_e32 v6, v57, v118
	v_fma_f32 v55, v55, v93, -v29
	v_fma_f32 v51, v51, v97, -v15
	v_mul_f32_e32 v15, v49, v100
	v_mul_f32_e32 v38, v43, v108
	v_fma_f32 v29, v11, v119, -v8
	v_fma_f32 v43, v73, v117, -v6
	v_add_f32_e32 v6, v61, v66
	v_add_f32_e32 v8, v62, v65
	v_fmac_f32_e32 v15, v33, v99
	v_fmac_f32_e32 v38, v27, v107
	v_mul_f32_e32 v27, v11, v120
	v_mul_f32_e32 v33, v7, v116
	v_add_f32_e32 v10, v63, v64
	v_add_f32_e32 v13, v8, v6
	v_fmac_f32_e32 v27, v9, v119
	v_fmac_f32_e32 v33, v5, v115
	v_mul_f32_e32 v5, v5, v116
	v_sub_f32_e32 v9, v68, v71
	v_sub_f32_e32 v11, v70, v69
	;; [unrolled: 1-line block ×5, first 2 shown]
	v_add_f32_e32 v10, v10, v13
	v_fma_f32 v5, v7, v115, -v5
	v_mul_f32_e32 v34, v73, v118
	v_sub_f32_e32 v7, v67, v72
	v_add_f32_e32 v47, v11, v9
	v_sub_f32_e32 v49, v11, v9
	v_add_f32_e32 v13, v18, v10
	v_fmac_f32_e32 v34, v57, v117
	v_sub_f32_e32 v11, v7, v11
	v_sub_f32_e32 v9, v9, v7
	v_add_f32_e32 v7, v47, v7
	v_mul_f32_e32 v6, 0x3f4a47b2, v6
	v_mul_f32_e32 v18, 0x3d64c772, v8
	;; [unrolled: 1-line block ×3, first 2 shown]
	v_mov_b32_e32 v57, v13
	v_mul_f32_e32 v49, 0xbf5ff5aa, v9
	v_fmac_f32_e32 v57, 0xbf955555, v10
	v_fma_f32 v10, v44, s5, -v18
	v_fma_f32 v18, v44, s6, -v6
	v_fmac_f32_e32 v6, 0x3d64c772, v8
	v_fma_f32 v8, v9, s4, -v47
	v_fmac_f32_e32 v47, 0xbeae86e6, v11
	v_fma_f32 v9, v11, s7, -v49
	v_add_f32_e32 v6, v6, v57
	v_add_f32_e32 v10, v10, v57
	v_fmac_f32_e32 v47, 0xbee1c552, v7
	v_fmac_f32_e32 v8, 0xbee1c552, v7
	;; [unrolled: 1-line block ×3, first 2 shown]
	v_add_f32_e32 v7, v47, v6
	v_sub_f32_e32 v44, v10, v8
	v_add_f32_e32 v8, v8, v10
	v_sub_f32_e32 v6, v6, v47
	v_add_f32_e32 v10, v41, v59
	v_add_f32_e32 v47, v45, v54
	v_mul_f32_e32 v40, v74, v110
	v_add_f32_e32 v11, v18, v57
	v_add_f32_e32 v57, v50, v52
	;; [unrolled: 1-line block ×3, first 2 shown]
	v_fmac_f32_e32 v40, v58, v109
	v_sub_f32_e32 v49, v53, v60
	v_sub_f32_e32 v58, v55, v46
	;; [unrolled: 1-line block ×5, first 2 shown]
	v_add_f32_e32 v57, v57, v73
	v_add_f32_e32 v18, v9, v11
	v_sub_f32_e32 v9, v11, v9
	v_sub_f32_e32 v11, v48, v51
	v_add_f32_e32 v79, v58, v49
	v_sub_f32_e32 v80, v58, v49
	v_add_f32_e32 v19, v19, v57
	v_sub_f32_e32 v58, v11, v58
	v_sub_f32_e32 v49, v49, v11
	v_add_f32_e32 v11, v79, v11
	v_mul_f32_e32 v10, 0x3f4a47b2, v10
	v_mul_f32_e32 v73, 0x3d64c772, v47
	;; [unrolled: 1-line block ×3, first 2 shown]
	v_mov_b32_e32 v81, v19
	v_mul_f32_e32 v80, 0xbf5ff5aa, v49
	v_fmac_f32_e32 v81, 0xbf955555, v57
	v_fma_f32 v57, v74, s5, -v73
	v_fma_f32 v73, v74, s6, -v10
	v_fmac_f32_e32 v10, 0x3d64c772, v47
	v_fma_f32 v47, v49, s4, -v79
	v_fmac_f32_e32 v79, 0xbeae86e6, v58
	v_fma_f32 v49, v58, s7, -v80
	v_add_f32_e32 v10, v10, v81
	v_add_f32_e32 v57, v57, v81
	v_fmac_f32_e32 v79, 0xbee1c552, v11
	v_fmac_f32_e32 v47, 0xbee1c552, v11
	;; [unrolled: 1-line block ×3, first 2 shown]
	v_add_f32_e32 v11, v79, v10
	v_sub_f32_e32 v74, v57, v47
	v_add_f32_e32 v57, v47, v57
	v_sub_f32_e32 v10, v10, v79
	v_add_f32_e32 v47, v15, v40
	v_add_f32_e32 v79, v25, v38
	;; [unrolled: 1-line block ×5, first 2 shown]
	v_sub_f32_e32 v80, v36, v39
	v_sub_f32_e32 v82, v24, v31
	;; [unrolled: 1-line block ×5, first 2 shown]
	v_add_f32_e32 v81, v81, v83
	v_add_f32_e32 v73, v49, v58
	v_sub_f32_e32 v58, v58, v49
	v_sub_f32_e32 v49, v32, v42
	v_add_f32_e32 v85, v82, v80
	v_sub_f32_e32 v86, v82, v80
	v_add_f32_e32 v14, v14, v81
	v_sub_f32_e32 v82, v49, v82
	v_sub_f32_e32 v80, v80, v49
	v_add_f32_e32 v49, v85, v49
	v_mul_f32_e32 v47, 0x3f4a47b2, v47
	v_mul_f32_e32 v83, 0x3d64c772, v79
	;; [unrolled: 1-line block ×3, first 2 shown]
	v_mov_b32_e32 v87, v14
	v_fmac_f32_e32 v87, 0xbf955555, v81
	v_fma_f32 v81, v84, s5, -v83
	v_fma_f32 v83, v84, s6, -v47
	v_fmac_f32_e32 v47, 0x3d64c772, v79
	v_fma_f32 v79, v80, s4, -v85
	v_fmac_f32_e32 v85, 0xbeae86e6, v82
	v_mul_f32_e32 v86, 0xbf5ff5aa, v80
	v_add_f32_e32 v47, v47, v87
	v_add_f32_e32 v81, v81, v87
	v_fmac_f32_e32 v85, 0xbee1c552, v49
	v_fmac_f32_e32 v79, 0xbee1c552, v49
	v_fma_f32 v80, v82, s7, -v86
	v_add_f32_e32 v82, v83, v87
	v_add_f32_e32 v83, v85, v47
	v_sub_f32_e32 v86, v81, v79
	v_add_f32_e32 v79, v79, v81
	v_sub_f32_e32 v81, v47, v85
	v_mov_b32_e32 v47, 0x460
	v_fmac_f32_e32 v80, 0xbee1c552, v49
	v_cndmask_b32_e64 v47, 0, v47, s[2:3]
	v_lshlrev_b32_e32 v49, 2, v123
	v_add3_u32 v47, 0, v47, v49
	ds_write2_b32 v47, v13, v7 offset1:40
	ds_write2_b32 v47, v18, v44 offset0:80 offset1:120
	ds_write2_b32 v47, v8, v9 offset0:160 offset1:200
	ds_write_b32 v47, v6 offset:960
	v_mov_b32_e32 v7, 2
	v_mul_u32_u24_e32 v6, 0x460, v124
	v_lshlrev_b32_sdwa v8, v7, v125 dst_sel:DWORD dst_unused:UNUSED_PAD src0_sel:DWORD src1_sel:BYTE_0
	v_add3_u32 v49, 0, v6, v8
	v_mul_u32_u24_e32 v6, 0x460, v126
	v_lshlrev_b32_sdwa v7, v7, v127 dst_sel:DWORD dst_unused:UNUSED_PAD src0_sel:DWORD src1_sel:BYTE_0
	ds_write2_b32 v49, v19, v11 offset1:40
	ds_write2_b32 v49, v73, v74 offset0:80 offset1:120
	ds_write2_b32 v49, v57, v58 offset0:160 offset1:200
	ds_write_b32 v49, v10 offset:960
	v_add3_u32 v57, 0, v6, v7
	v_lshl_add_u32 v44, v128, 2, 0
	v_add_f32_e32 v84, v80, v82
	v_sub_f32_e32 v80, v82, v80
	ds_write2_b32 v57, v14, v83 offset1:40
	ds_write2_b32 v57, v84, v86 offset0:80 offset1:120
	ds_write2_b32 v57, v79, v80 offset0:160 offset1:200
	ds_write_b32 v57, v81 offset:960
	s_and_saveexec_b64 s[2:3], vcc
	s_cbranch_execz .LBB0_41
; %bb.40:
	v_add_f32_e32 v6, v21, v34
	v_add_f32_e32 v7, v27, v30
	v_sub_f32_e32 v8, v6, v7
	v_mul_f32_e32 v8, 0x3f4a47b2, v8
	v_add_f32_e32 v9, v17, v33
	v_sub_f32_e32 v10, v7, v9
	v_mov_b32_e32 v13, v8
	v_mul_f32_e32 v11, 0x3d64c772, v10
	v_fmac_f32_e32 v13, 0x3d64c772, v10
	v_add_f32_e32 v10, v9, v6
	v_add_f32_e32 v7, v7, v10
	;; [unrolled: 1-line block ×3, first 2 shown]
	v_mov_b32_e32 v12, v10
	v_sub_f32_e32 v14, v4, v29
	v_sub_f32_e32 v19, v28, v5
	v_fmac_f32_e32 v12, 0xbf955555, v7
	v_sub_f32_e32 v58, v14, v19
	v_add_f32_e32 v7, v13, v12
	v_sub_f32_e32 v13, v26, v43
	v_mul_f32_e32 v58, 0x3f08b237, v58
	v_sub_f32_e32 v18, v13, v14
	v_mov_b32_e32 v73, v58
	v_add_f32_e32 v14, v14, v19
	v_sub_f32_e32 v6, v9, v6
	v_sub_f32_e32 v9, v19, v13
	v_fmac_f32_e32 v73, 0xbeae86e6, v18
	v_add_f32_e32 v14, v14, v13
	v_fma_f32 v8, v6, s6, -v8
	v_mul_f32_e32 v13, 0xbf5ff5aa, v9
	v_fma_f32 v9, v9, s4, -v58
	v_fma_f32 v6, v6, s5, -v11
	v_fmac_f32_e32 v73, 0xbee1c552, v14
	v_fma_f32 v13, v18, s7, -v13
	v_fmac_f32_e32 v9, 0xbee1c552, v14
	v_add_f32_e32 v6, v6, v12
	v_sub_f32_e32 v74, v7, v73
	v_add_f32_e32 v8, v8, v12
	v_fmac_f32_e32 v13, 0xbee1c552, v14
	v_add_f32_e32 v11, v9, v6
	v_sub_f32_e32 v6, v6, v9
	v_add_f32_e32 v7, v73, v7
	v_add_u32_e32 v9, 0x1000, v44
	v_sub_f32_e32 v18, v8, v13
	v_add_f32_e32 v8, v13, v8
	ds_write2_b32 v9, v10, v7 offset0:96 offset1:136
	ds_write2_b32 v9, v8, v6 offset0:176 offset1:216
	v_add_u32_e32 v6, 0x1400, v44
	ds_write2_b32 v6, v11, v18 offset1:40
	ds_write_b32 v44, v74 offset:5440
.LBB0_41:
	s_or_b64 exec, exec, s[2:3]
	v_add_f32_e32 v6, v67, v72
	v_add_f32_e32 v8, v68, v71
	;; [unrolled: 1-line block ×4, first 2 shown]
	v_sub_f32_e32 v9, v62, v65
	v_sub_f32_e32 v11, v64, v63
	;; [unrolled: 1-line block ×5, first 2 shown]
	v_add_f32_e32 v10, v10, v12
	v_sub_f32_e32 v7, v61, v66
	v_add_f32_e32 v14, v11, v9
	v_sub_f32_e32 v18, v11, v9
	;; [unrolled: 2-line block ×3, first 2 shown]
	v_sub_f32_e32 v9, v9, v7
	v_add_f32_e32 v7, v14, v7
	v_mul_f32_e32 v6, 0x3f4a47b2, v6
	v_mul_f32_e32 v12, 0x3d64c772, v8
	;; [unrolled: 1-line block ×3, first 2 shown]
	v_mov_b32_e32 v19, v22
	v_fmac_f32_e32 v19, 0xbf955555, v10
	v_fma_f32 v10, v13, s5, -v12
	v_fma_f32 v12, v13, s6, -v6
	v_fmac_f32_e32 v6, 0x3d64c772, v8
	v_fma_f32 v8, v9, s4, -v14
	v_fmac_f32_e32 v14, 0xbeae86e6, v11
	v_mul_f32_e32 v18, 0xbf5ff5aa, v9
	v_add_f32_e32 v6, v6, v19
	v_add_f32_e32 v10, v10, v19
	v_fmac_f32_e32 v14, 0xbee1c552, v7
	v_fmac_f32_e32 v8, 0xbee1c552, v7
	v_fma_f32 v9, v11, s7, -v18
	v_sub_f32_e32 v58, v6, v14
	v_add_f32_e32 v62, v8, v10
	v_sub_f32_e32 v63, v10, v8
	v_add_f32_e32 v65, v14, v6
	v_add_f32_e32 v6, v48, v51
	v_add_f32_e32 v8, v53, v60
	v_add_f32_e32 v11, v12, v19
	v_fmac_f32_e32 v9, 0xbee1c552, v7
	v_add_f32_e32 v10, v46, v55
	v_add_f32_e32 v12, v8, v6
	v_sub_f32_e32 v61, v11, v9
	v_add_f32_e32 v64, v9, v11
	v_sub_f32_e32 v9, v45, v54
	v_sub_f32_e32 v11, v52, v50
	;; [unrolled: 1-line block ×5, first 2 shown]
	v_add_f32_e32 v10, v10, v12
	v_sub_f32_e32 v7, v41, v59
	v_add_f32_e32 v14, v11, v9
	v_sub_f32_e32 v18, v11, v9
	;; [unrolled: 2-line block ×3, first 2 shown]
	v_sub_f32_e32 v9, v9, v7
	v_add_f32_e32 v7, v14, v7
	v_mul_f32_e32 v6, 0x3f4a47b2, v6
	v_mul_f32_e32 v12, 0x3d64c772, v8
	;; [unrolled: 1-line block ×3, first 2 shown]
	v_mov_b32_e32 v19, v23
	v_fmac_f32_e32 v19, 0xbf955555, v10
	v_fma_f32 v10, v13, s5, -v12
	v_fma_f32 v12, v13, s6, -v6
	v_fmac_f32_e32 v6, 0x3d64c772, v8
	v_fma_f32 v8, v9, s4, -v14
	v_fmac_f32_e32 v14, 0xbeae86e6, v11
	v_mul_f32_e32 v18, 0xbf5ff5aa, v9
	v_add_f32_e32 v6, v6, v19
	v_add_f32_e32 v10, v10, v19
	v_fmac_f32_e32 v14, 0xbee1c552, v7
	v_fmac_f32_e32 v8, 0xbee1c552, v7
	v_fma_f32 v9, v11, s7, -v18
	v_sub_f32_e32 v45, v6, v14
	v_add_f32_e32 v48, v8, v10
	v_sub_f32_e32 v50, v10, v8
	v_add_f32_e32 v52, v14, v6
	v_add_f32_e32 v6, v32, v42
	;; [unrolled: 1-line block ×4, first 2 shown]
	v_fmac_f32_e32 v9, 0xbee1c552, v7
	v_add_f32_e32 v10, v31, v24
	v_add_f32_e32 v12, v8, v6
	v_sub_f32_e32 v46, v11, v9
	v_add_f32_e32 v51, v9, v11
	v_sub_f32_e32 v9, v25, v38
	v_sub_f32_e32 v11, v37, v35
	;; [unrolled: 1-line block ×5, first 2 shown]
	v_add_f32_e32 v10, v10, v12
	v_sub_f32_e32 v7, v15, v40
	v_add_f32_e32 v14, v11, v9
	v_sub_f32_e32 v15, v11, v9
	;; [unrolled: 2-line block ×3, first 2 shown]
	v_sub_f32_e32 v9, v9, v7
	v_add_f32_e32 v7, v14, v7
	v_mul_f32_e32 v6, 0x3f4a47b2, v6
	v_mul_f32_e32 v12, 0x3d64c772, v8
	;; [unrolled: 1-line block ×3, first 2 shown]
	v_mov_b32_e32 v18, v53
	v_mul_f32_e32 v15, 0xbf5ff5aa, v9
	v_fmac_f32_e32 v18, 0xbf955555, v10
	v_fma_f32 v10, v13, s5, -v12
	v_fma_f32 v12, v13, s6, -v6
	v_fmac_f32_e32 v6, 0x3d64c772, v8
	v_fma_f32 v8, v9, s4, -v14
	v_fmac_f32_e32 v14, 0xbeae86e6, v11
	v_fma_f32 v9, v11, s7, -v15
	v_add_f32_e32 v6, v6, v18
	v_add_f32_e32 v10, v10, v18
	v_fmac_f32_e32 v14, 0xbee1c552, v7
	v_fmac_f32_e32 v8, 0xbee1c552, v7
	v_add_f32_e32 v11, v12, v18
	v_fmac_f32_e32 v9, 0xbee1c552, v7
	v_sub_f32_e32 v54, v6, v14
	v_add_f32_e32 v59, v8, v10
	v_sub_f32_e32 v60, v10, v8
	v_add_f32_e32 v67, v14, v6
	v_add_u32_e32 v8, 0x200, v1
	v_add_u32_e32 v20, 0x800, v1
	;; [unrolled: 1-line block ×5, first 2 shown]
	v_sub_f32_e32 v55, v11, v9
	v_add_f32_e32 v66, v9, v11
	s_waitcnt lgkmcnt(0)
	; wave barrier
	s_waitcnt lgkmcnt(0)
	ds_read2_b32 v[6:7], v1 offset1:56
	ds_read2_b32 v[12:13], v8 offset0:96 offset1:152
	ds_read2_b32 v[10:11], v20 offset0:48 offset1:104
	;; [unrolled: 1-line block ×8, first 2 shown]
	v_add_u32_e32 v20, 0x1200, v1
	ds_read2_b32 v[41:42], v20 offset0:80 offset1:136
	ds_read2_b32 v[35:36], v35 offset0:192 offset1:248
	v_add_u32_e32 v20, 0xe00, v1
	ds_read2_b32 v[37:38], v20 offset0:112 offset1:168
	ds_read_b32 v20, v1 offset:5376
	s_waitcnt lgkmcnt(0)
	; wave barrier
	s_waitcnt lgkmcnt(0)
	ds_write2_b32 v47, v22, v58 offset1:40
	ds_write2_b32 v47, v61, v62 offset0:80 offset1:120
	ds_write2_b32 v47, v63, v64 offset0:160 offset1:200
	ds_write_b32 v47, v65 offset:960
	ds_write2_b32 v49, v23, v45 offset1:40
	ds_write2_b32 v49, v46, v48 offset0:80 offset1:120
	ds_write2_b32 v49, v50, v51 offset0:160 offset1:200
	ds_write_b32 v49, v52 offset:960
	;; [unrolled: 4-line block ×3, first 2 shown]
	s_and_saveexec_b64 s[2:3], vcc
	s_cbranch_execz .LBB0_43
; %bb.42:
	v_add_f32_e32 v22, v26, v43
	v_add_f32_e32 v5, v28, v5
	;; [unrolled: 1-line block ×4, first 2 shown]
	v_sub_f32_e32 v23, v30, v27
	v_sub_f32_e32 v27, v5, v22
	;; [unrolled: 1-line block ×4, first 2 shown]
	v_add_f32_e32 v4, v4, v26
	v_sub_f32_e32 v17, v17, v33
	v_add_f32_e32 v16, v16, v4
	v_sub_f32_e32 v21, v21, v34
	;; [unrolled: 2-line block ×3, first 2 shown]
	v_mul_f32_e32 v26, 0x3d64c772, v5
	v_mov_b32_e32 v30, v16
	v_sub_f32_e32 v23, v21, v23
	v_sub_f32_e32 v17, v17, v21
	v_add_f32_e32 v21, v28, v21
	v_mul_f32_e32 v22, 0x3f4a47b2, v22
	v_mul_f32_e32 v28, 0x3f08b237, v29
	v_fmac_f32_e32 v30, 0xbf955555, v4
	v_fma_f32 v4, v27, s5, -v26
	s_mov_b32 s5, 0xbf3bfb3b
	v_mul_f32_e32 v29, 0xbf5ff5aa, v17
	v_fma_f32 v26, v27, s5, -v22
	v_fmac_f32_e32 v22, 0x3d64c772, v5
	v_fma_f32 v5, v17, s4, -v28
	s_mov_b32 s4, 0x3eae86e6
	v_fmac_f32_e32 v28, 0xbeae86e6, v23
	v_fma_f32 v17, v23, s4, -v29
	v_add_f32_e32 v22, v22, v30
	v_add_f32_e32 v4, v4, v30
	;; [unrolled: 1-line block ×3, first 2 shown]
	v_fmac_f32_e32 v28, 0xbee1c552, v21
	v_fmac_f32_e32 v5, 0xbee1c552, v21
	;; [unrolled: 1-line block ×3, first 2 shown]
	v_sub_f32_e32 v21, v22, v28
	v_sub_f32_e32 v26, v23, v17
	v_add_f32_e32 v27, v5, v4
	v_sub_f32_e32 v4, v4, v5
	v_add_f32_e32 v5, v17, v23
	v_add_f32_e32 v17, v28, v22
	v_add_u32_e32 v22, 0x1000, v44
	ds_write2_b32 v22, v16, v21 offset0:96 offset1:136
	ds_write2_b32 v22, v26, v27 offset0:176 offset1:216
	v_add_u32_e32 v16, 0x1400, v44
	ds_write2_b32 v16, v4, v5 offset1:40
	ds_write_b32 v44, v17 offset:5440
.LBB0_43:
	s_or_b64 exec, exec, s[2:3]
	s_waitcnt lgkmcnt(0)
	; wave barrier
	s_waitcnt lgkmcnt(0)
	s_and_saveexec_b64 s[2:3], s[0:1]
	s_cbranch_execz .LBB0_45
; %bb.44:
	v_lshlrev_b32_e32 v4, 2, v78
	v_mov_b32_e32 v5, 0
	v_lshlrev_b64 v[16:17], 3, v[4:5]
	v_mov_b32_e32 v46, s9
	v_add_co_u32_e32 v16, vcc, s8, v16
	v_addc_co_u32_e32 v17, vcc, v46, v17, vcc
	global_load_dwordx4 v[47:50], v[16:17], off offset:2224
	global_load_dwordx4 v[51:54], v[16:17], off offset:2240
	v_add_u32_e32 v55, 0x400, v1
	v_add_u32_e32 v4, 0xe00, v1
	;; [unrolled: 1-line block ×3, first 2 shown]
	ds_read_b32 v21, v1 offset:5376
	ds_read2_b32 v[43:44], v55 offset0:192 offset1:248
	ds_read2_b32 v[29:30], v78 offset0:16 offset1:72
	ds_read2_b32 v[65:66], v4 offset0:112 offset1:168
	v_lshlrev_b32_e32 v4, 2, v77
	v_lshlrev_b64 v[16:17], 3, v[4:5]
	v_add_u32_e32 v22, 0x200, v1
	v_add_co_u32_e32 v16, vcc, s8, v16
	v_addc_co_u32_e32 v17, vcc, v46, v17, vcc
	global_load_dwordx4 v[57:60], v[16:17], off offset:2240
	global_load_dwordx4 v[61:64], v[16:17], off offset:2224
	ds_read2_b32 v[33:34], v22 offset0:96 offset1:152
	s_movk_i32 s0, 0x1000
	s_waitcnt vmcnt(3)
	v_mul_f32_e32 v16, v8, v50
	s_waitcnt vmcnt(2)
	v_mul_f32_e32 v22, v38, v52
	v_mul_f32_e32 v4, v36, v48
	;; [unrolled: 1-line block ×3, first 2 shown]
	s_waitcnt lgkmcnt(3)
	v_mul_f32_e32 v28, v44, v48
	s_waitcnt lgkmcnt(2)
	v_mul_f32_e32 v48, v29, v50
	;; [unrolled: 2-line block ×3, first 2 shown]
	v_fma_f32 v29, v49, v29, -v16
	v_fma_f32 v52, v51, v66, -v22
	v_mul_f32_e32 v45, v21, v54
	v_fma_f32 v4, v47, v44, -v4
	v_fma_f32 v44, v53, v21, -v17
	v_add_f32_e32 v17, v29, v52
	v_fmac_f32_e32 v28, v36, v47
	v_fmac_f32_e32 v45, v20, v53
	s_waitcnt lgkmcnt(0)
	v_fma_f32 v27, -0.5, v17, v33
	v_fmac_f32_e32 v48, v8, v49
	v_fmac_f32_e32 v50, v38, v51
	v_sub_f32_e32 v36, v28, v45
	v_mov_b32_e32 v17, v27
	v_sub_f32_e32 v8, v4, v29
	v_sub_f32_e32 v16, v44, v52
	;; [unrolled: 1-line block ×3, first 2 shown]
	v_fmac_f32_e32 v27, 0x3f737871, v36
	v_fmac_f32_e32 v17, 0xbf737871, v36
	v_sub_f32_e32 v47, v4, v44
	v_sub_f32_e32 v23, v29, v4
	v_add_f32_e32 v53, v4, v44
	v_add_f32_e32 v8, v8, v16
	v_fmac_f32_e32 v27, 0x3f167918, v38
	v_fmac_f32_e32 v17, 0xbf167918, v38
	v_add_f32_e32 v4, v4, v33
	v_add_f32_e32 v22, v48, v50
	v_sub_f32_e32 v51, v52, v44
	v_sub_f32_e32 v54, v48, v28
	;; [unrolled: 1-line block ×3, first 2 shown]
	v_add_f32_e32 v67, v28, v45
	v_fmac_f32_e32 v27, 0x3e9e377a, v8
	v_fmac_f32_e32 v17, 0x3e9e377a, v8
	v_add_f32_e32 v4, v29, v4
	v_add_u32_e32 v8, 0x800, v1
	v_fma_f32 v26, -0.5, v22, v12
	v_add_f32_e32 v51, v23, v51
	v_fma_f32 v23, -0.5, v53, v33
	v_add_f32_e32 v53, v54, v66
	;; [unrolled: 2-line block ×3, first 2 shown]
	ds_read2_b32 v[66:67], v8 offset0:160 offset1:216
	v_sub_f32_e32 v49, v29, v52
	v_add_f32_e32 v29, v44, v4
	v_add_f32_e32 v4, v12, v28
	;; [unrolled: 1-line block ×4, first 2 shown]
	v_sub_f32_e32 v20, v28, v48
	v_add_f32_e32 v28, v45, v4
	s_waitcnt vmcnt(0)
	v_mul_f32_e32 v4, v40, v64
	v_mov_b32_e32 v16, v26
	s_waitcnt lgkmcnt(0)
	v_fma_f32 v12, v63, v67, -v4
	v_mul_f32_e32 v4, v35, v62
	v_sub_f32_e32 v21, v45, v50
	v_fmac_f32_e32 v16, 0x3f737871, v47
	v_fmac_f32_e32 v26, 0xbf737871, v47
	v_fma_f32 v33, v61, v43, -v4
	v_mul_f32_e32 v4, v37, v58
	v_add_f32_e32 v68, v20, v21
	v_fmac_f32_e32 v16, 0x3f167918, v49
	v_fmac_f32_e32 v26, 0xbf167918, v49
	v_fma_f32 v72, v57, v65, -v4
	v_add_u32_e32 v4, 0x1200, v1
	v_fmac_f32_e32 v16, 0x3e9e377a, v68
	v_fmac_f32_e32 v26, 0x3e9e377a, v68
	ds_read2_b32 v[68:69], v4 offset0:80 offset1:136
	v_lshlrev_b32_e32 v4, 2, v76
	v_lshlrev_b64 v[44:45], 3, v[4:5]
	v_mov_b32_e32 v21, v23
	v_mov_b32_e32 v20, v22
	v_fmac_f32_e32 v23, 0xbf737871, v38
	v_fmac_f32_e32 v22, 0x3f737871, v49
	;; [unrolled: 1-line block ×4, first 2 shown]
	v_add_co_u32_e32 v44, vcc, s8, v44
	v_fmac_f32_e32 v23, 0x3f167918, v36
	v_fmac_f32_e32 v22, 0xbf167918, v47
	;; [unrolled: 1-line block ×4, first 2 shown]
	v_addc_co_u32_e32 v45, vcc, v46, v45, vcc
	v_fmac_f32_e32 v23, 0x3e9e377a, v51
	v_fmac_f32_e32 v22, 0x3e9e377a, v53
	;; [unrolled: 1-line block ×4, first 2 shown]
	global_load_dwordx4 v[47:50], v[44:45], off offset:2240
	global_load_dwordx4 v[51:54], v[44:45], off offset:2224
	ds_read2_b32 v[70:71], v1 offset0:112 offset1:168
	v_mul_f32_e32 v4, v42, v60
	s_waitcnt lgkmcnt(1)
	v_fma_f32 v4, v59, v69, -v4
	v_sub_f32_e32 v36, v12, v33
	v_sub_f32_e32 v38, v72, v4
	v_mul_f32_e32 v64, v67, v64
	v_mul_f32_e32 v60, v69, v60
	v_add_f32_e32 v73, v36, v38
	v_fmac_f32_e32 v64, v40, v63
	v_mul_f32_e32 v40, v65, v58
	v_add_f32_e32 v36, v33, v4
	v_mul_f32_e32 v58, v43, v62
	v_fmac_f32_e32 v60, v42, v59
	v_sub_f32_e32 v62, v33, v4
	v_sub_f32_e32 v42, v33, v12
	;; [unrolled: 1-line block ×3, first 2 shown]
	s_waitcnt lgkmcnt(0)
	v_add_f32_e32 v33, v33, v71
	v_sub_f32_e32 v65, v12, v72
	v_add_f32_e32 v63, v42, v43
	v_add_f32_e32 v42, v12, v72
	;; [unrolled: 1-line block ×3, first 2 shown]
	v_fmac_f32_e32 v58, v35, v61
	v_add_f32_e32 v12, v72, v12
	v_fmac_f32_e32 v40, v37, v57
	v_add_f32_e32 v33, v4, v12
	v_add_f32_e32 v4, v32, v58
	v_sub_f32_e32 v35, v64, v58
	v_sub_f32_e32 v37, v40, v60
	v_fma_f32 v43, -0.5, v42, v71
	v_sub_f32_e32 v42, v58, v64
	v_sub_f32_e32 v44, v60, v40
	v_add_f32_e32 v4, v64, v4
	v_fma_f32 v38, -0.5, v36, v71
	v_sub_f32_e32 v59, v58, v60
	v_add_f32_e32 v61, v35, v37
	v_add_f32_e32 v35, v58, v60
	v_mov_b32_e32 v45, v43
	v_add_f32_e32 v67, v42, v44
	v_add_f32_e32 v42, v64, v40
	;; [unrolled: 1-line block ×3, first 2 shown]
	v_sub_f32_e32 v57, v64, v40
	v_mov_b32_e32 v36, v38
	v_fma_f32 v37, -0.5, v35, v32
	v_fmac_f32_e32 v45, 0x3f737871, v59
	v_fma_f32 v42, -0.5, v42, v32
	v_add_f32_e32 v32, v4, v60
	v_fmac_f32_e32 v43, 0xbf737871, v59
	v_lshlrev_b32_e32 v4, 2, v75
	v_fmac_f32_e32 v36, 0x3f737871, v57
	v_fmac_f32_e32 v45, 0x3f167918, v57
	;; [unrolled: 1-line block ×4, first 2 shown]
	v_lshlrev_b64 v[57:58], 3, v[4:5]
	v_fmac_f32_e32 v36, 0xbf167918, v59
	v_mov_b32_e32 v35, v37
	v_fmac_f32_e32 v38, 0x3f167918, v59
	v_fmac_f32_e32 v36, 0x3e9e377a, v73
	;; [unrolled: 1-line block ×5, first 2 shown]
	ds_read2_b32 v[71:72], v55 offset0:80 offset1:136
	v_add_co_u32_e32 v73, vcc, s8, v57
	v_fmac_f32_e32 v35, 0x3f167918, v62
	v_mov_b32_e32 v44, v42
	v_fmac_f32_e32 v37, 0xbf167918, v62
	v_addc_co_u32_e32 v74, vcc, v46, v58, vcc
	v_fmac_f32_e32 v35, 0x3e9e377a, v61
	v_fmac_f32_e32 v45, 0x3e9e377a, v63
	;; [unrolled: 1-line block ×6, first 2 shown]
	global_load_dwordx4 v[57:60], v[73:74], off offset:2240
	global_load_dwordx4 v[61:64], v[73:74], off offset:2224
	ds_read2_b32 v[73:74], v78 offset0:128 offset1:184
	v_fmac_f32_e32 v44, 0xbf167918, v65
	v_fmac_f32_e32 v42, 0x3f167918, v65
	s_waitcnt vmcnt(3)
	v_mul_f32_e32 v55, v41, v50
	s_waitcnt vmcnt(2)
	v_mul_f32_e32 v4, v25, v52
	s_waitcnt lgkmcnt(1)
	v_mul_f32_e32 v52, v72, v52
	v_mul_f32_e32 v12, v39, v54
	v_fma_f32 v69, v49, v68, -v55
	v_mul_f32_e32 v55, v19, v48
	v_fmac_f32_e32 v52, v25, v51
	v_mul_f32_e32 v25, v68, v50
	v_fma_f32 v4, v51, v72, -v4
	v_fma_f32 v12, v53, v66, -v12
	s_waitcnt lgkmcnt(0)
	v_fma_f32 v75, v47, v74, -v55
	v_fmac_f32_e32 v25, v41, v49
	v_mul_f32_e32 v49, v66, v54
	v_fmac_f32_e32 v49, v39, v53
	v_mul_f32_e32 v48, v74, v48
	v_sub_f32_e32 v53, v12, v4
	v_sub_f32_e32 v65, v75, v69
	;; [unrolled: 1-line block ×3, first 2 shown]
	v_fmac_f32_e32 v48, v19, v47
	v_sub_f32_e32 v50, v4, v69
	v_add_f32_e32 v53, v53, v65
	v_add_f32_e32 v65, v4, v69
	;; [unrolled: 1-line block ×3, first 2 shown]
	v_sub_f32_e32 v55, v69, v75
	v_sub_f32_e32 v39, v52, v49
	;; [unrolled: 1-line block ×3, first 2 shown]
	v_add_f32_e32 v4, v12, v4
	v_add_f32_e32 v76, v40, v55
	;; [unrolled: 1-line block ×6, first 2 shown]
	v_fma_f32 v40, -0.5, v40, v70
	v_fma_f32 v39, -0.5, v39, v31
	;; [unrolled: 1-line block ×3, first 2 shown]
	v_add_f32_e32 v70, v69, v4
	v_add_f32_e32 v4, v31, v52
	v_mov_b32_e32 v54, v39
	v_add_f32_e32 v4, v4, v49
	v_fmac_f32_e32 v54, 0x3f737871, v50
	v_sub_f32_e32 v51, v12, v75
	v_fmac_f32_e32 v39, 0xbf737871, v50
	v_add_f32_e32 v4, v4, v48
	v_fmac_f32_e32 v44, 0x3e9e377a, v67
	v_fmac_f32_e32 v42, 0x3e9e377a, v67
	v_sub_f32_e32 v41, v52, v25
	v_mov_b32_e32 v55, v40
	v_fmac_f32_e32 v54, 0x3f167918, v51
	v_sub_f32_e32 v65, v49, v52
	v_sub_f32_e32 v67, v48, v25
	v_fmac_f32_e32 v39, 0xbf167918, v51
	v_add_f32_e32 v69, v25, v4
	v_lshlrev_b32_e32 v4, 2, v0
	v_fmac_f32_e32 v55, 0xbf737871, v41
	v_sub_f32_e32 v19, v49, v48
	v_fmac_f32_e32 v54, 0x3e9e377a, v47
	v_add_f32_e32 v72, v65, v67
	v_add_f32_e32 v65, v52, v25
	v_fmac_f32_e32 v40, 0x3f737871, v41
	v_fmac_f32_e32 v39, 0x3e9e377a, v47
	v_lshlrev_b64 v[47:48], 3, v[4:5]
	v_fmac_f32_e32 v55, 0xbf167918, v19
	v_mov_b32_e32 v68, v66
	v_fma_f32 v65, -0.5, v65, v31
	v_fmac_f32_e32 v40, 0x3f167918, v19
	v_fmac_f32_e32 v55, 0x3e9e377a, v76
	;; [unrolled: 1-line block ×3, first 2 shown]
	v_mov_b32_e32 v67, v65
	v_fmac_f32_e32 v40, 0x3e9e377a, v76
	v_fmac_f32_e32 v66, 0x3f737871, v19
	v_add_co_u32_e32 v76, vcc, s8, v47
	v_fmac_f32_e32 v68, 0x3f167918, v41
	v_fmac_f32_e32 v67, 0x3f737871, v51
	;; [unrolled: 1-line block ×4, first 2 shown]
	v_addc_co_u32_e32 v77, vcc, v46, v48, vcc
	v_fmac_f32_e32 v68, 0x3e9e377a, v53
	v_fmac_f32_e32 v67, 0xbf167918, v50
	;; [unrolled: 1-line block ×4, first 2 shown]
	ds_read2_b32 v[74:75], v8 offset0:48 offset1:104
	global_load_dwordx4 v[46:49], v[76:77], off offset:2240
	global_load_dwordx4 v[50:53], v[76:77], off offset:2224
	s_waitcnt vmcnt(2)
	v_mul_f32_e32 v12, v24, v62
	v_fma_f32 v4, v61, v71, -v12
	v_add_u32_e32 v12, 0x1000, v1
	ds_read2_b32 v[76:77], v12 offset0:96 offset1:152
	ds_read2_b32 v[78:79], v1 offset1:56
	v_mul_f32_e32 v19, v15, v60
	v_mul_f32_e32 v8, v11, v64
	s_waitcnt lgkmcnt(2)
	v_fma_f32 v8, v63, v75, -v8
	s_waitcnt lgkmcnt(1)
	v_fma_f32 v31, v59, v77, -v19
	v_mul_f32_e32 v19, v18, v58
	v_fma_f32 v1, v57, v73, -v19
	v_mul_f32_e32 v62, v71, v62
	v_fmac_f32_e32 v62, v24, v61
	v_sub_f32_e32 v24, v8, v4
	v_sub_f32_e32 v25, v1, v31
	;; [unrolled: 1-line block ×3, first 2 shown]
	v_mul_f32_e32 v61, v73, v58
	v_sub_f32_e32 v71, v4, v31
	v_add_f32_e32 v73, v24, v25
	v_add_f32_e32 v24, v4, v31
	s_waitcnt lgkmcnt(0)
	v_add_f32_e32 v4, v4, v79
	v_sub_f32_e32 v19, v31, v1
	v_mul_f32_e32 v60, v77, v60
	v_add_f32_e32 v4, v8, v4
	v_fmac_f32_e32 v67, 0x3e9e377a, v72
	v_fmac_f32_e32 v65, 0x3e9e377a, v72
	v_add_f32_e32 v41, v12, v19
	v_add_f32_e32 v12, v8, v1
	v_fmac_f32_e32 v60, v15, v59
	v_mul_f32_e32 v59, v75, v64
	v_sub_f32_e32 v72, v8, v1
	v_add_f32_e32 v1, v1, v4
	v_fmac_f32_e32 v59, v11, v63
	v_fmac_f32_e32 v61, v18, v57
	v_add_f32_e32 v8, v31, v1
	v_add_f32_e32 v1, v7, v62
	v_sub_f32_e32 v11, v62, v59
	v_sub_f32_e32 v18, v60, v61
	v_fma_f32 v25, -0.5, v24, v79
	v_sub_f32_e32 v24, v59, v62
	v_sub_f32_e32 v57, v61, v60
	v_add_f32_e32 v1, v1, v59
	v_fma_f32 v12, -0.5, v12, v79
	v_add_f32_e32 v64, v11, v18
	v_add_f32_e32 v11, v59, v61
	;; [unrolled: 1-line block ×5, first 2 shown]
	v_sub_f32_e32 v15, v62, v60
	v_mov_b32_e32 v19, v12
	v_fma_f32 v11, -0.5, v11, v7
	v_fma_f32 v24, -0.5, v24, v7
	v_add_f32_e32 v7, v60, v1
	v_fmac_f32_e32 v19, 0xbf737871, v15
	v_sub_f32_e32 v63, v59, v61
	v_fmac_f32_e32 v12, 0x3f737871, v15
	v_fmac_f32_e32 v19, 0xbf167918, v63
	;; [unrolled: 1-line block ×5, first 2 shown]
	v_mov_b32_e32 v58, v25
	v_fmac_f32_e32 v58, 0x3f737871, v63
	v_fmac_f32_e32 v25, 0xbf737871, v63
	;; [unrolled: 1-line block ×4, first 2 shown]
	v_mov_b32_e32 v57, v24
	v_mov_b32_e32 v18, v11
	v_fmac_f32_e32 v57, 0xbf737871, v72
	v_fmac_f32_e32 v18, 0x3f737871, v71
	;; [unrolled: 1-line block ×11, first 2 shown]
	s_waitcnt vmcnt(1)
	v_mul_f32_e32 v31, v14, v49
	s_waitcnt vmcnt(0)
	v_mul_f32_e32 v1, v13, v51
	v_fma_f32 v1, v50, v34, -v1
	v_mul_f32_e32 v34, v34, v51
	v_fmac_f32_e32 v34, v13, v50
	v_mul_f32_e32 v13, v76, v49
	v_fma_f32 v41, v48, v76, -v31
	v_fmac_f32_e32 v13, v14, v48
	v_mul_f32_e32 v48, v74, v53
	v_mul_f32_e32 v51, v30, v47
	v_fmac_f32_e32 v48, v10, v52
	v_fmac_f32_e32 v51, v9, v46
	v_mul_f32_e32 v4, v10, v53
	v_mul_f32_e32 v31, v9, v47
	v_sub_f32_e32 v9, v34, v48
	v_sub_f32_e32 v10, v13, v51
	v_fma_f32 v4, v52, v74, -v4
	v_fma_f32 v59, v46, v30, -v31
	v_add_f32_e32 v49, v9, v10
	v_add_f32_e32 v9, v48, v51
	v_fma_f32 v14, -0.5, v9, v6
	v_sub_f32_e32 v9, v4, v1
	v_sub_f32_e32 v10, v59, v41
	v_sub_f32_e32 v15, v1, v4
	v_sub_f32_e32 v53, v1, v41
	v_mov_b32_e32 v30, v14
	v_add_f32_e32 v62, v9, v10
	v_add_f32_e32 v9, v1, v41
	;; [unrolled: 1-line block ×3, first 2 shown]
	v_fmac_f32_e32 v30, 0x3f737871, v53
	v_sub_f32_e32 v61, v4, v59
	v_fmac_f32_e32 v14, 0xbf737871, v53
	v_add_f32_e32 v1, v4, v1
	v_fmac_f32_e32 v30, 0x3f167918, v61
	v_fmac_f32_e32 v14, 0xbf167918, v61
	v_add_f32_e32 v1, v59, v1
	v_fmac_f32_e32 v30, 0x3e9e377a, v49
	v_fmac_f32_e32 v14, 0x3e9e377a, v49
	v_add_f32_e32 v49, v41, v1
	v_add_f32_e32 v1, v6, v34
	;; [unrolled: 1-line block ×3, first 2 shown]
	v_fma_f32 v10, -0.5, v9, v78
	v_sub_f32_e32 v9, v48, v34
	v_sub_f32_e32 v46, v51, v13
	v_add_f32_e32 v1, v1, v51
	v_sub_f32_e32 v31, v41, v59
	v_sub_f32_e32 v52, v48, v51
	v_add_f32_e32 v63, v9, v46
	v_add_f32_e32 v9, v34, v13
	;; [unrolled: 1-line block ×3, first 2 shown]
	v_mov_b32_e32 v1, v5
	v_add_f32_e32 v60, v15, v31
	v_add_f32_e32 v15, v4, v59
	v_fma_f32 v9, -0.5, v9, v6
	v_mov_b32_e32 v4, s13
	v_add_co_u32_e32 v6, vcc, s12, v2
	v_lshlrev_b64 v[1:2], 3, v[0:1]
	v_sub_f32_e32 v50, v34, v13
	v_addc_co_u32_e32 v34, vcc, v4, v3, vcc
	v_fma_f32 v15, -0.5, v15, v78
	v_mov_b32_e32 v47, v10
	v_mov_b32_e32 v46, v9
	v_add_co_u32_e32 v1, vcc, v6, v1
	v_mov_b32_e32 v31, v15
	v_fmac_f32_e32 v47, 0xbf737871, v52
	v_fmac_f32_e32 v46, 0x3f737871, v61
	;; [unrolled: 1-line block ×4, first 2 shown]
	v_addc_co_u32_e32 v2, vcc, v34, v2, vcc
	v_fmac_f32_e32 v47, 0x3f167918, v50
	v_fmac_f32_e32 v46, 0xbf167918, v53
	;; [unrolled: 1-line block ×5, first 2 shown]
	v_add_co_u32_e32 v13, vcc, s0, v1
	v_fmac_f32_e32 v47, 0x3e9e377a, v62
	v_fmac_f32_e32 v46, 0x3e9e377a, v63
	;; [unrolled: 1-line block ×5, first 2 shown]
	global_store_dwordx2 v[1:2], v[48:49], off
	global_store_dwordx2 v[1:2], v[14:15], off offset:2240
	v_addc_co_u32_e32 v14, vcc, 0, v2, vcc
	s_movk_i32 s0, 0x2000
	v_fmac_f32_e32 v10, 0x3e9e377a, v62
	global_store_dwordx2 v[13:14], v[46:47], off offset:384
	global_store_dwordx2 v[13:14], v[9:10], off offset:2624
	v_add_co_u32_e32 v9, vcc, s0, v1
	s_mov_b32 s0, 0xea0ea0f
	v_or_b32_e32 v4, 0x380, v0
	v_mul_hi_u32 v0, v56, s0
	v_lshlrev_b64 v[3:4], 3, v[4:5]
	v_fmac_f32_e32 v31, 0xbf737871, v50
	v_addc_co_u32_e32 v10, vcc, 0, v2, vcc
	v_fmac_f32_e32 v31, 0xbf167918, v52
	v_add_co_u32_e32 v3, vcc, v6, v3
	v_fmac_f32_e32 v31, 0x3e9e377a, v60
	v_addc_co_u32_e32 v4, vcc, v34, v4, vcc
	v_lshrrev_b32_e32 v0, 1, v0
	v_fmac_f32_e32 v25, 0x3e9e377a, v73
	v_fmac_f32_e32 v24, 0x3e9e377a, v75
	;; [unrolled: 1-line block ×3, first 2 shown]
	global_store_dwordx2 v[9:10], v[30:31], off offset:768
	global_store_dwordx2 v[1:2], v[7:8], off offset:448
	global_store_dwordx2 v[1:2], v[11:12], off offset:2688
	global_store_dwordx2 v[13:14], v[24:25], off offset:832
	global_store_dwordx2 v[3:4], v[57:58], off
	global_store_dwordx2 v[9:10], v[18:19], off offset:1216
	global_store_dwordx2 v[1:2], v[69:70], off offset:896
	;; [unrolled: 1-line block ×8, first 2 shown]
	v_mul_u32_u24_e32 v4, 0x460, v0
	v_lshlrev_b64 v[3:4], 3, v[4:5]
	global_store_dwordx2 v[13:14], v[37:38], off offset:1728
	global_store_dwordx2 v[13:14], v[35:36], off offset:3968
	;; [unrolled: 1-line block ×3, first 2 shown]
	v_add_co_u32_e32 v0, vcc, v1, v3
	v_addc_co_u32_e32 v1, vcc, v2, v4, vcc
	v_add_co_u32_e32 v2, vcc, 0x1000, v0
	v_addc_co_u32_e32 v3, vcc, 0, v1, vcc
	global_store_dwordx2 v[0:1], v[28:29], off offset:1792
	global_store_dwordx2 v[0:1], v[26:27], off offset:4032
	v_add_co_u32_e32 v0, vcc, 0x2000, v0
	v_addc_co_u32_e32 v1, vcc, 0, v1, vcc
	global_store_dwordx2 v[2:3], v[22:23], off offset:2176
	global_store_dwordx2 v[0:1], v[20:21], off offset:320
	;; [unrolled: 1-line block ×3, first 2 shown]
.LBB0_45:
	s_endpgm
	.section	.rodata,"a",@progbits
	.p2align	6, 0x0
	.amdhsa_kernel fft_rtc_back_len1400_factors_2_2_2_5_7_5_wgs_56_tpt_56_halfLds_sp_ip_CI_unitstride_sbrr_dirReg
		.amdhsa_group_segment_fixed_size 0
		.amdhsa_private_segment_fixed_size 0
		.amdhsa_kernarg_size 88
		.amdhsa_user_sgpr_count 6
		.amdhsa_user_sgpr_private_segment_buffer 1
		.amdhsa_user_sgpr_dispatch_ptr 0
		.amdhsa_user_sgpr_queue_ptr 0
		.amdhsa_user_sgpr_kernarg_segment_ptr 1
		.amdhsa_user_sgpr_dispatch_id 0
		.amdhsa_user_sgpr_flat_scratch_init 0
		.amdhsa_user_sgpr_private_segment_size 0
		.amdhsa_uses_dynamic_stack 0
		.amdhsa_system_sgpr_private_segment_wavefront_offset 0
		.amdhsa_system_sgpr_workgroup_id_x 1
		.amdhsa_system_sgpr_workgroup_id_y 0
		.amdhsa_system_sgpr_workgroup_id_z 0
		.amdhsa_system_sgpr_workgroup_info 0
		.amdhsa_system_vgpr_workitem_id 0
		.amdhsa_next_free_vgpr 129
		.amdhsa_next_free_sgpr 22
		.amdhsa_reserve_vcc 1
		.amdhsa_reserve_flat_scratch 0
		.amdhsa_float_round_mode_32 0
		.amdhsa_float_round_mode_16_64 0
		.amdhsa_float_denorm_mode_32 3
		.amdhsa_float_denorm_mode_16_64 3
		.amdhsa_dx10_clamp 1
		.amdhsa_ieee_mode 1
		.amdhsa_fp16_overflow 0
		.amdhsa_exception_fp_ieee_invalid_op 0
		.amdhsa_exception_fp_denorm_src 0
		.amdhsa_exception_fp_ieee_div_zero 0
		.amdhsa_exception_fp_ieee_overflow 0
		.amdhsa_exception_fp_ieee_underflow 0
		.amdhsa_exception_fp_ieee_inexact 0
		.amdhsa_exception_int_div_zero 0
	.end_amdhsa_kernel
	.text
.Lfunc_end0:
	.size	fft_rtc_back_len1400_factors_2_2_2_5_7_5_wgs_56_tpt_56_halfLds_sp_ip_CI_unitstride_sbrr_dirReg, .Lfunc_end0-fft_rtc_back_len1400_factors_2_2_2_5_7_5_wgs_56_tpt_56_halfLds_sp_ip_CI_unitstride_sbrr_dirReg
                                        ; -- End function
	.section	.AMDGPU.csdata,"",@progbits
; Kernel info:
; codeLenInByte = 14664
; NumSgprs: 26
; NumVgprs: 129
; ScratchSize: 0
; MemoryBound: 0
; FloatMode: 240
; IeeeMode: 1
; LDSByteSize: 0 bytes/workgroup (compile time only)
; SGPRBlocks: 3
; VGPRBlocks: 32
; NumSGPRsForWavesPerEU: 26
; NumVGPRsForWavesPerEU: 129
; Occupancy: 1
; WaveLimiterHint : 1
; COMPUTE_PGM_RSRC2:SCRATCH_EN: 0
; COMPUTE_PGM_RSRC2:USER_SGPR: 6
; COMPUTE_PGM_RSRC2:TRAP_HANDLER: 0
; COMPUTE_PGM_RSRC2:TGID_X_EN: 1
; COMPUTE_PGM_RSRC2:TGID_Y_EN: 0
; COMPUTE_PGM_RSRC2:TGID_Z_EN: 0
; COMPUTE_PGM_RSRC2:TIDIG_COMP_CNT: 0
	.type	__hip_cuid_8adc1df64dc13101,@object ; @__hip_cuid_8adc1df64dc13101
	.section	.bss,"aw",@nobits
	.globl	__hip_cuid_8adc1df64dc13101
__hip_cuid_8adc1df64dc13101:
	.byte	0                               ; 0x0
	.size	__hip_cuid_8adc1df64dc13101, 1

	.ident	"AMD clang version 19.0.0git (https://github.com/RadeonOpenCompute/llvm-project roc-6.4.0 25133 c7fe45cf4b819c5991fe208aaa96edf142730f1d)"
	.section	".note.GNU-stack","",@progbits
	.addrsig
	.addrsig_sym __hip_cuid_8adc1df64dc13101
	.amdgpu_metadata
---
amdhsa.kernels:
  - .args:
      - .actual_access:  read_only
        .address_space:  global
        .offset:         0
        .size:           8
        .value_kind:     global_buffer
      - .offset:         8
        .size:           8
        .value_kind:     by_value
      - .actual_access:  read_only
        .address_space:  global
        .offset:         16
        .size:           8
        .value_kind:     global_buffer
      - .actual_access:  read_only
        .address_space:  global
        .offset:         24
        .size:           8
        .value_kind:     global_buffer
      - .offset:         32
        .size:           8
        .value_kind:     by_value
      - .actual_access:  read_only
        .address_space:  global
        .offset:         40
        .size:           8
        .value_kind:     global_buffer
      - .actual_access:  read_only
        .address_space:  global
        .offset:         48
        .size:           8
        .value_kind:     global_buffer
      - .offset:         56
        .size:           4
        .value_kind:     by_value
      - .actual_access:  read_only
        .address_space:  global
        .offset:         64
        .size:           8
        .value_kind:     global_buffer
      - .actual_access:  read_only
        .address_space:  global
        .offset:         72
        .size:           8
        .value_kind:     global_buffer
      - .address_space:  global
        .offset:         80
        .size:           8
        .value_kind:     global_buffer
    .group_segment_fixed_size: 0
    .kernarg_segment_align: 8
    .kernarg_segment_size: 88
    .language:       OpenCL C
    .language_version:
      - 2
      - 0
    .max_flat_workgroup_size: 56
    .name:           fft_rtc_back_len1400_factors_2_2_2_5_7_5_wgs_56_tpt_56_halfLds_sp_ip_CI_unitstride_sbrr_dirReg
    .private_segment_fixed_size: 0
    .sgpr_count:     26
    .sgpr_spill_count: 0
    .symbol:         fft_rtc_back_len1400_factors_2_2_2_5_7_5_wgs_56_tpt_56_halfLds_sp_ip_CI_unitstride_sbrr_dirReg.kd
    .uniform_work_group_size: 1
    .uses_dynamic_stack: false
    .vgpr_count:     129
    .vgpr_spill_count: 0
    .wavefront_size: 64
amdhsa.target:   amdgcn-amd-amdhsa--gfx906
amdhsa.version:
  - 1
  - 2
...

	.end_amdgpu_metadata
